;; amdgpu-corpus repo=ROCm/rocFFT kind=compiled arch=gfx1030 opt=O3
	.text
	.amdgcn_target "amdgcn-amd-amdhsa--gfx1030"
	.amdhsa_code_object_version 6
	.protected	fft_rtc_back_len1260_factors_2_2_3_3_5_7_wgs_63_tpt_63_halfLds_dp_ip_CI_unitstride_sbrr_R2C_dirReg ; -- Begin function fft_rtc_back_len1260_factors_2_2_3_3_5_7_wgs_63_tpt_63_halfLds_dp_ip_CI_unitstride_sbrr_R2C_dirReg
	.globl	fft_rtc_back_len1260_factors_2_2_3_3_5_7_wgs_63_tpt_63_halfLds_dp_ip_CI_unitstride_sbrr_R2C_dirReg
	.p2align	8
	.type	fft_rtc_back_len1260_factors_2_2_3_3_5_7_wgs_63_tpt_63_halfLds_dp_ip_CI_unitstride_sbrr_R2C_dirReg,@function
fft_rtc_back_len1260_factors_2_2_3_3_5_7_wgs_63_tpt_63_halfLds_dp_ip_CI_unitstride_sbrr_R2C_dirReg: ; @fft_rtc_back_len1260_factors_2_2_3_3_5_7_wgs_63_tpt_63_halfLds_dp_ip_CI_unitstride_sbrr_R2C_dirReg
; %bb.0:
	s_clause 0x2
	s_load_dwordx4 s[8:11], s[4:5], 0x0
	s_load_dwordx2 s[2:3], s[4:5], 0x50
	s_load_dwordx2 s[12:13], s[4:5], 0x18
	v_mul_u32_u24_e32 v1, 0x411, v0
	v_mov_b32_e32 v3, 0
	v_add_nc_u32_sdwa v5, s6, v1 dst_sel:DWORD dst_unused:UNUSED_PAD src0_sel:DWORD src1_sel:WORD_1
	v_mov_b32_e32 v1, 0
	v_mov_b32_e32 v6, v3
	v_mov_b32_e32 v2, 0
	s_waitcnt lgkmcnt(0)
	v_cmp_lt_u64_e64 s0, s[10:11], 2
	s_and_b32 vcc_lo, exec_lo, s0
	s_cbranch_vccnz .LBB0_8
; %bb.1:
	s_load_dwordx2 s[0:1], s[4:5], 0x10
	v_mov_b32_e32 v1, 0
	s_add_u32 s6, s12, 8
	v_mov_b32_e32 v2, 0
	s_addc_u32 s7, s13, 0
	s_mov_b64 s[16:17], 1
	s_waitcnt lgkmcnt(0)
	s_add_u32 s14, s0, 8
	s_addc_u32 s15, s1, 0
.LBB0_2:                                ; =>This Inner Loop Header: Depth=1
	s_load_dwordx2 s[18:19], s[14:15], 0x0
                                        ; implicit-def: $vgpr7_vgpr8
	s_mov_b32 s0, exec_lo
	s_waitcnt lgkmcnt(0)
	v_or_b32_e32 v4, s19, v6
	v_cmpx_ne_u64_e32 0, v[3:4]
	s_xor_b32 s1, exec_lo, s0
	s_cbranch_execz .LBB0_4
; %bb.3:                                ;   in Loop: Header=BB0_2 Depth=1
	v_cvt_f32_u32_e32 v4, s18
	v_cvt_f32_u32_e32 v7, s19
	s_sub_u32 s0, 0, s18
	s_subb_u32 s20, 0, s19
	v_fmac_f32_e32 v4, 0x4f800000, v7
	v_rcp_f32_e32 v4, v4
	v_mul_f32_e32 v4, 0x5f7ffffc, v4
	v_mul_f32_e32 v7, 0x2f800000, v4
	v_trunc_f32_e32 v7, v7
	v_fmac_f32_e32 v4, 0xcf800000, v7
	v_cvt_u32_f32_e32 v7, v7
	v_cvt_u32_f32_e32 v4, v4
	v_mul_lo_u32 v8, s0, v7
	v_mul_hi_u32 v9, s0, v4
	v_mul_lo_u32 v10, s20, v4
	v_add_nc_u32_e32 v8, v9, v8
	v_mul_lo_u32 v9, s0, v4
	v_add_nc_u32_e32 v8, v8, v10
	v_mul_hi_u32 v10, v4, v9
	v_mul_lo_u32 v11, v4, v8
	v_mul_hi_u32 v12, v4, v8
	v_mul_hi_u32 v13, v7, v9
	v_mul_lo_u32 v9, v7, v9
	v_mul_hi_u32 v14, v7, v8
	v_mul_lo_u32 v8, v7, v8
	v_add_co_u32 v10, vcc_lo, v10, v11
	v_add_co_ci_u32_e32 v11, vcc_lo, 0, v12, vcc_lo
	v_add_co_u32 v9, vcc_lo, v10, v9
	v_add_co_ci_u32_e32 v9, vcc_lo, v11, v13, vcc_lo
	v_add_co_ci_u32_e32 v10, vcc_lo, 0, v14, vcc_lo
	v_add_co_u32 v8, vcc_lo, v9, v8
	v_add_co_ci_u32_e32 v9, vcc_lo, 0, v10, vcc_lo
	v_add_co_u32 v4, vcc_lo, v4, v8
	v_add_co_ci_u32_e32 v7, vcc_lo, v7, v9, vcc_lo
	v_mul_hi_u32 v8, s0, v4
	v_mul_lo_u32 v10, s20, v4
	v_mul_lo_u32 v9, s0, v7
	v_add_nc_u32_e32 v8, v8, v9
	v_mul_lo_u32 v9, s0, v4
	v_add_nc_u32_e32 v8, v8, v10
	v_mul_hi_u32 v10, v4, v9
	v_mul_lo_u32 v11, v4, v8
	v_mul_hi_u32 v12, v4, v8
	v_mul_hi_u32 v13, v7, v9
	v_mul_lo_u32 v9, v7, v9
	v_mul_hi_u32 v14, v7, v8
	v_mul_lo_u32 v8, v7, v8
	v_add_co_u32 v10, vcc_lo, v10, v11
	v_add_co_ci_u32_e32 v11, vcc_lo, 0, v12, vcc_lo
	v_add_co_u32 v9, vcc_lo, v10, v9
	v_add_co_ci_u32_e32 v9, vcc_lo, v11, v13, vcc_lo
	v_add_co_ci_u32_e32 v10, vcc_lo, 0, v14, vcc_lo
	v_add_co_u32 v8, vcc_lo, v9, v8
	v_add_co_ci_u32_e32 v9, vcc_lo, 0, v10, vcc_lo
	v_add_co_u32 v4, vcc_lo, v4, v8
	v_add_co_ci_u32_e32 v11, vcc_lo, v7, v9, vcc_lo
	v_mul_hi_u32 v13, v5, v4
	v_mad_u64_u32 v[9:10], null, v6, v4, 0
	v_mad_u64_u32 v[7:8], null, v5, v11, 0
	;; [unrolled: 1-line block ×3, first 2 shown]
	v_add_co_u32 v4, vcc_lo, v13, v7
	v_add_co_ci_u32_e32 v7, vcc_lo, 0, v8, vcc_lo
	v_add_co_u32 v4, vcc_lo, v4, v9
	v_add_co_ci_u32_e32 v4, vcc_lo, v7, v10, vcc_lo
	v_add_co_ci_u32_e32 v7, vcc_lo, 0, v12, vcc_lo
	v_add_co_u32 v4, vcc_lo, v4, v11
	v_add_co_ci_u32_e32 v9, vcc_lo, 0, v7, vcc_lo
	v_mul_lo_u32 v10, s19, v4
	v_mad_u64_u32 v[7:8], null, s18, v4, 0
	v_mul_lo_u32 v11, s18, v9
	v_sub_co_u32 v7, vcc_lo, v5, v7
	v_add3_u32 v8, v8, v11, v10
	v_sub_nc_u32_e32 v10, v6, v8
	v_subrev_co_ci_u32_e64 v10, s0, s19, v10, vcc_lo
	v_add_co_u32 v11, s0, v4, 2
	v_add_co_ci_u32_e64 v12, s0, 0, v9, s0
	v_sub_co_u32 v13, s0, v7, s18
	v_sub_co_ci_u32_e32 v8, vcc_lo, v6, v8, vcc_lo
	v_subrev_co_ci_u32_e64 v10, s0, 0, v10, s0
	v_cmp_le_u32_e32 vcc_lo, s18, v13
	v_cmp_eq_u32_e64 s0, s19, v8
	v_cndmask_b32_e64 v13, 0, -1, vcc_lo
	v_cmp_le_u32_e32 vcc_lo, s19, v10
	v_cndmask_b32_e64 v14, 0, -1, vcc_lo
	v_cmp_le_u32_e32 vcc_lo, s18, v7
	;; [unrolled: 2-line block ×3, first 2 shown]
	v_cndmask_b32_e64 v15, 0, -1, vcc_lo
	v_cmp_eq_u32_e32 vcc_lo, s19, v10
	v_cndmask_b32_e64 v7, v15, v7, s0
	v_cndmask_b32_e32 v10, v14, v13, vcc_lo
	v_add_co_u32 v13, vcc_lo, v4, 1
	v_add_co_ci_u32_e32 v14, vcc_lo, 0, v9, vcc_lo
	v_cmp_ne_u32_e32 vcc_lo, 0, v10
	v_cndmask_b32_e32 v8, v14, v12, vcc_lo
	v_cndmask_b32_e32 v10, v13, v11, vcc_lo
	v_cmp_ne_u32_e32 vcc_lo, 0, v7
	v_cndmask_b32_e32 v8, v9, v8, vcc_lo
	v_cndmask_b32_e32 v7, v4, v10, vcc_lo
.LBB0_4:                                ;   in Loop: Header=BB0_2 Depth=1
	s_andn2_saveexec_b32 s0, s1
	s_cbranch_execz .LBB0_6
; %bb.5:                                ;   in Loop: Header=BB0_2 Depth=1
	v_cvt_f32_u32_e32 v4, s18
	s_sub_i32 s1, 0, s18
	v_rcp_iflag_f32_e32 v4, v4
	v_mul_f32_e32 v4, 0x4f7ffffe, v4
	v_cvt_u32_f32_e32 v4, v4
	v_mul_lo_u32 v7, s1, v4
	v_mul_hi_u32 v7, v4, v7
	v_add_nc_u32_e32 v4, v4, v7
	v_mul_hi_u32 v4, v5, v4
	v_mul_lo_u32 v7, v4, s18
	v_add_nc_u32_e32 v8, 1, v4
	v_sub_nc_u32_e32 v7, v5, v7
	v_subrev_nc_u32_e32 v9, s18, v7
	v_cmp_le_u32_e32 vcc_lo, s18, v7
	v_cndmask_b32_e32 v7, v7, v9, vcc_lo
	v_cndmask_b32_e32 v4, v4, v8, vcc_lo
	v_cmp_le_u32_e32 vcc_lo, s18, v7
	v_add_nc_u32_e32 v8, 1, v4
	v_cndmask_b32_e32 v7, v4, v8, vcc_lo
	v_mov_b32_e32 v8, v3
.LBB0_6:                                ;   in Loop: Header=BB0_2 Depth=1
	s_or_b32 exec_lo, exec_lo, s0
	s_load_dwordx2 s[0:1], s[6:7], 0x0
	v_mul_lo_u32 v4, v8, s18
	v_mul_lo_u32 v11, v7, s19
	v_mad_u64_u32 v[9:10], null, v7, s18, 0
	s_add_u32 s16, s16, 1
	s_addc_u32 s17, s17, 0
	s_add_u32 s6, s6, 8
	s_addc_u32 s7, s7, 0
	;; [unrolled: 2-line block ×3, first 2 shown]
	v_add3_u32 v4, v10, v11, v4
	v_sub_co_u32 v5, vcc_lo, v5, v9
	v_sub_co_ci_u32_e32 v4, vcc_lo, v6, v4, vcc_lo
	s_waitcnt lgkmcnt(0)
	v_mul_lo_u32 v6, s1, v5
	v_mul_lo_u32 v4, s0, v4
	v_mad_u64_u32 v[1:2], null, s0, v5, v[1:2]
	v_cmp_ge_u64_e64 s0, s[16:17], s[10:11]
	s_and_b32 vcc_lo, exec_lo, s0
	v_add3_u32 v2, v6, v2, v4
	s_cbranch_vccnz .LBB0_9
; %bb.7:                                ;   in Loop: Header=BB0_2 Depth=1
	v_mov_b32_e32 v5, v7
	v_mov_b32_e32 v6, v8
	s_branch .LBB0_2
.LBB0_8:
	v_mov_b32_e32 v8, v6
	v_mov_b32_e32 v7, v5
.LBB0_9:
	s_lshl_b64 s[0:1], s[10:11], 3
	v_mul_hi_u32 v3, 0x4104105, v0
	s_add_u32 s0, s12, s0
	s_addc_u32 s1, s13, s1
	s_load_dwordx2 s[4:5], s[4:5], 0x20
	s_load_dwordx2 s[0:1], s[0:1], 0x0
	v_mul_u32_u24_e32 v3, 63, v3
	v_sub_nc_u32_e32 v136, v0, v3
	v_add_nc_u32_e32 v138, 63, v136
	v_add_nc_u32_e32 v149, 0x7e, v136
	;; [unrolled: 1-line block ×5, first 2 shown]
	s_waitcnt lgkmcnt(0)
	v_cmp_gt_u64_e32 vcc_lo, s[4:5], v[7:8]
	v_mul_lo_u32 v3, s0, v8
	v_mul_lo_u32 v4, s1, v7
	v_mad_u64_u32 v[0:1], null, s0, v7, v[1:2]
	v_cmp_le_u64_e64 s0, s[4:5], v[7:8]
	v_add_nc_u32_e32 v145, 0x17a, v136
	v_add_nc_u32_e32 v144, 0x1b9, v136
	;; [unrolled: 1-line block ×4, first 2 shown]
	v_add3_u32 v1, v4, v1, v3
	s_and_saveexec_b32 s1, s0
	s_xor_b32 s0, exec_lo, s1
; %bb.10:
	v_add_nc_u32_e32 v138, 63, v136
	v_add_nc_u32_e32 v149, 0x7e, v136
	;; [unrolled: 1-line block ×9, first 2 shown]
; %bb.11:
	s_or_saveexec_b32 s1, s0
	v_lshlrev_b64 v[140:141], 4, v[0:1]
	s_xor_b32 exec_lo, exec_lo, s1
	s_cbranch_execz .LBB0_13
; %bb.12:
	v_mov_b32_e32 v137, 0
	v_add_co_u32 v2, s0, s2, v140
	v_add_co_ci_u32_e64 v3, s0, s3, v141, s0
	v_lshlrev_b64 v[0:1], 4, v[136:137]
	v_lshl_add_u32 v80, v136, 4, 0
	v_add_co_u32 v24, s0, v2, v0
	v_add_co_ci_u32_e64 v25, s0, v3, v1, s0
	v_add_co_u32 v16, s0, 0x800, v24
	v_add_co_ci_u32_e64 v17, s0, 0, v25, s0
	;; [unrolled: 2-line block ×10, first 2 shown]
	s_clause 0x13
	global_load_dwordx4 v[0:3], v[24:25], off
	global_load_dwordx4 v[4:7], v[24:25], off offset:1008
	global_load_dwordx4 v[8:11], v[24:25], off offset:2016
	;; [unrolled: 1-line block ×19, first 2 shown]
	s_waitcnt vmcnt(19)
	ds_write_b128 v80, v[0:3]
	s_waitcnt vmcnt(18)
	ds_write_b128 v80, v[4:7] offset:1008
	s_waitcnt vmcnt(17)
	ds_write_b128 v80, v[8:11] offset:2016
	;; [unrolled: 2-line block ×19, first 2 shown]
.LBB0_13:
	s_or_b32 exec_lo, exec_lo, s1
	v_lshlrev_b32_e32 v137, 4, v136
	s_waitcnt lgkmcnt(0)
	s_barrier
	buffer_gl0_inv
	v_lshl_add_u32 v80, v138, 5, 0
	v_add_nc_u32_e32 v152, 0, v137
	v_lshl_add_u32 v81, v149, 5, 0
	v_lshl_add_u32 v118, v148, 5, 0
	;; [unrolled: 1-line block ×4, first 2 shown]
	ds_read_b128 v[0:3], v152 offset:10080
	ds_read_b128 v[4:7], v152
	ds_read_b128 v[8:11], v152 offset:1008
	ds_read_b128 v[12:15], v152 offset:11088
	;; [unrolled: 1-line block ×18, first 2 shown]
	v_add_nc_u32_e32 v82, v152, v137
	s_waitcnt lgkmcnt(0)
	s_barrier
	buffer_gl0_inv
	v_lshl_add_u32 v154, v144, 5, 0
	v_add_f64 v[16:17], v[20:21], -v[16:17]
	v_add_f64 v[18:19], v[22:23], -v[18:19]
	;; [unrolled: 1-line block ×4, first 2 shown]
	v_lshl_add_u32 v153, v142, 5, 0
	v_add_f64 v[40:41], v[32:33], -v[40:41]
	v_add_f64 v[42:43], v[34:35], -v[42:43]
	v_add_f64 v[44:45], v[36:37], -v[44:45]
	v_add_f64 v[46:47], v[38:39], -v[46:47]
	v_add_f64 v[56:57], v[48:49], -v[56:57]
	v_add_f64 v[58:59], v[50:51], -v[58:59]
	v_add_f64 v[0:1], v[4:5], -v[0:1]
	v_add_f64 v[2:3], v[6:7], -v[2:3]
	v_add_f64 v[12:13], v[8:9], -v[12:13]
	v_add_f64 v[14:15], v[10:11], -v[14:15]
	v_add_f64 v[60:61], v[52:53], -v[60:61]
	v_add_f64 v[62:63], v[54:55], -v[62:63]
	v_add_f64 v[76:77], v[68:69], -v[76:77]
	v_add_f64 v[78:79], v[70:71], -v[78:79]
	v_add_f64 v[72:73], v[64:65], -v[72:73]
	v_add_f64 v[74:75], v[66:67], -v[74:75]
	v_lshl_add_u32 v116, v143, 5, 0
	v_fma_f64 v[20:21], v[20:21], 2.0, -v[16:17]
	v_fma_f64 v[22:23], v[22:23], 2.0, -v[18:19]
	;; [unrolled: 1-line block ×4, first 2 shown]
	v_lshlrev_b32_e32 v115, 4, v145
	v_fma_f64 v[32:33], v[32:33], 2.0, -v[40:41]
	v_fma_f64 v[34:35], v[34:35], 2.0, -v[42:43]
	;; [unrolled: 1-line block ×4, first 2 shown]
	v_lshlrev_b32_e32 v139, 4, v144
	v_lshl_add_u32 v156, v138, 4, 0
	v_fma_f64 v[4:5], v[4:5], 2.0, -v[0:1]
	v_fma_f64 v[6:7], v[6:7], 2.0, -v[2:3]
	;; [unrolled: 1-line block ×4, first 2 shown]
	ds_write_b128 v82, v[0:3] offset:16
	v_fma_f64 v[0:1], v[48:49], 2.0, -v[56:57]
	v_fma_f64 v[2:3], v[50:51], 2.0, -v[58:59]
	ds_write_b128 v80, v[12:15] offset:16
	v_fma_f64 v[12:13], v[52:53], 2.0, -v[60:61]
	v_fma_f64 v[14:15], v[54:55], 2.0, -v[62:63]
	ds_write_b128 v81, v[16:19] offset:16
	v_fma_f64 v[16:17], v[64:65], 2.0, -v[72:73]
	v_fma_f64 v[18:19], v[66:67], 2.0, -v[74:75]
	v_lshlrev_b32_e32 v121, 4, v148
	v_lshlrev_b32_e32 v122, 4, v147
	v_lshl_add_u32 v155, v149, 4, 0
	v_lshlrev_b32_e32 v123, 4, v146
	v_lshlrev_b32_e32 v117, 4, v143
	v_sub_nc_u32_e32 v130, v118, v121
	v_sub_nc_u32_e32 v131, v119, v122
	v_lshlrev_b32_e32 v158, 4, v142
	v_sub_nc_u32_e32 v134, v120, v123
	v_sub_nc_u32_e32 v132, v116, v117
	ds_write_b128 v82, v[4:7]
	ds_write_b128 v80, v[8:11]
	v_fma_f64 v[4:5], v[68:69], 2.0, -v[76:77]
	v_fma_f64 v[6:7], v[70:71], 2.0, -v[78:79]
	ds_write_b128 v81, v[20:23]
	ds_write_b128 v118, v[24:27]
	v_and_b32_e32 v25, 1, v136
	v_lshl_add_u32 v80, v145, 5, 0
	v_and_b32_e32 v24, 1, v138
	ds_write_b128 v118, v[28:31] offset:16
	ds_write_b128 v119, v[32:35]
	ds_write_b128 v119, v[40:43] offset:16
	ds_write_b128 v120, v[36:39]
	;; [unrolled: 2-line block ×3, first 2 shown]
	ds_write_b128 v80, v[56:59] offset:16
	v_lshlrev_b32_e32 v0, 4, v25
	ds_write_b128 v154, v[12:15]
	ds_write_b128 v154, v[60:63] offset:16
	ds_write_b128 v116, v[16:19]
	ds_write_b128 v116, v[72:75] offset:16
	v_and_b32_e32 v26, 1, v148
	v_and_b32_e32 v27, 1, v146
	ds_write_b128 v153, v[76:79] offset:16
	v_and_b32_e32 v28, 1, v144
	v_and_b32_e32 v29, 1, v142
	v_lshlrev_b32_e32 v8, 4, v26
	v_lshlrev_b32_e32 v12, 4, v27
	;; [unrolled: 1-line block ×6, first 2 shown]
	ds_write_b128 v153, v[4:7]
	v_lshlrev_b32_e32 v4, 4, v24
	s_waitcnt lgkmcnt(0)
	s_barrier
	buffer_gl0_inv
	s_clause 0x5
	global_load_dwordx4 v[0:3], v0, s[8:9]
	global_load_dwordx4 v[4:7], v4, s[8:9]
	;; [unrolled: 1-line block ×6, first 2 shown]
	v_lshlrev_b32_e32 v32, 1, v149
	v_lshlrev_b32_e32 v33, 1, v148
	;; [unrolled: 1-line block ×8, first 2 shown]
	v_and_or_b32 v30, 0x7c, v30, v25
	v_and_or_b32 v31, 0xfc, v31, v24
	;; [unrolled: 1-line block ×8, first 2 shown]
	ds_read_b128 v[24:27], v152 offset:10080
	v_and_or_b32 v135, 0x3fc, v36, v28
	v_and_or_b32 v151, 0x4fc, v39, v29
	v_lshl_add_u32 v157, v30, 4, 0
	v_lshl_add_u32 v159, v31, 4, 0
	ds_read_b128 v[28:31], v152 offset:11088
	v_lshl_add_u32 v160, v32, 4, 0
	v_lshl_add_u32 v161, v33, 4, 0
	;; [unrolled: 1-line block ×3, first 2 shown]
	ds_read_b128 v[32:35], v152 offset:13104
	ds_read_b128 v[36:39], v152 offset:12096
	v_sub_nc_u32_e32 v64, v80, v115
	v_sub_nc_u32_e32 v68, v154, v139
	v_lshl_add_u32 v163, v40, 4, 0
	v_lshl_add_u32 v164, v41, 4, 0
	ds_read_b128 v[40:43], v152 offset:15120
	ds_read_b128 v[44:47], v152 offset:14112
	;; [unrolled: 1-line block ×5, first 2 shown]
	ds_read_b128 v[60:63], v152
	ds_read_b128 v[64:67], v64
	;; [unrolled: 1-line block ×3, first 2 shown]
	ds_read_b128 v[72:75], v152 offset:19152
	ds_read_b128 v[76:79], v156
	ds_read_b128 v[81:84], v155
	;; [unrolled: 1-line block ×3, first 2 shown]
	v_sub_nc_u32_e32 v133, v153, v158
	v_cmp_gt_u32_e64 s0, 42, v136
	s_waitcnt vmcnt(5) lgkmcnt(15)
	v_mul_f64 v[89:90], v[26:27], v[2:3]
	v_mul_f64 v[91:92], v[24:25], v[2:3]
	s_waitcnt vmcnt(4) lgkmcnt(14)
	v_mul_f64 v[97:98], v[30:31], v[6:7]
	v_mul_f64 v[6:7], v[28:29], v[6:7]
	s_waitcnt lgkmcnt(12)
	v_mul_f64 v[101:102], v[38:39], v[2:3]
	v_mul_f64 v[103:104], v[36:37], v[2:3]
	s_waitcnt vmcnt(3)
	v_mul_f64 v[99:100], v[34:35], v[10:11]
	v_mul_f64 v[10:11], v[32:33], v[10:11]
	s_waitcnt lgkmcnt(10)
	v_mul_f64 v[107:108], v[46:47], v[2:3]
	v_mul_f64 v[109:110], v[44:45], v[2:3]
	s_waitcnt vmcnt(2)
	v_mul_f64 v[105:106], v[42:43], v[14:15]
	v_mul_f64 v[14:15], v[40:41], v[14:15]
	s_waitcnt lgkmcnt(9)
	v_mul_f64 v[113:114], v[50:51], v[2:3]
	v_mul_f64 v[124:125], v[48:49], v[2:3]
	s_waitcnt vmcnt(1) lgkmcnt(8)
	v_mul_f64 v[111:112], v[54:55], v[18:19]
	v_mul_f64 v[18:19], v[52:53], v[18:19]
	s_waitcnt lgkmcnt(7)
	v_mul_f64 v[126:127], v[58:59], v[2:3]
	v_mul_f64 v[2:3], v[56:57], v[2:3]
	s_waitcnt vmcnt(0) lgkmcnt(3)
	v_mul_f64 v[128:129], v[74:75], v[22:23]
	v_mul_f64 v[22:23], v[72:73], v[22:23]
	v_fma_f64 v[24:25], v[24:25], v[0:1], v[89:90]
	v_fma_f64 v[26:27], v[26:27], v[0:1], -v[91:92]
	v_fma_f64 v[28:29], v[28:29], v[4:5], v[97:98]
	v_fma_f64 v[30:31], v[30:31], v[4:5], -v[6:7]
	;; [unrolled: 2-line block ×6, first 2 shown]
	ds_read_b128 v[89:92], v131
	ds_read_b128 v[93:96], v134
	v_fma_f64 v[48:49], v[48:49], v[0:1], v[113:114]
	v_fma_f64 v[50:51], v[50:51], v[0:1], -v[124:125]
	v_fma_f64 v[52:53], v[52:53], v[16:17], v[111:112]
	v_fma_f64 v[54:55], v[54:55], v[16:17], -v[18:19]
	;; [unrolled: 2-line block ×3, first 2 shown]
	v_fma_f64 v[72:73], v[72:73], v[20:21], v[128:129]
	ds_read_b128 v[0:3], v132
	ds_read_b128 v[4:7], v133
	v_fma_f64 v[74:75], v[74:75], v[20:21], -v[22:23]
	v_add_f64 v[8:9], v[60:61], -v[24:25]
	v_add_f64 v[10:11], v[62:63], -v[26:27]
	s_waitcnt lgkmcnt(6)
	v_add_f64 v[12:13], v[76:77], -v[28:29]
	v_add_f64 v[14:15], v[78:79], -v[30:31]
	s_waitcnt lgkmcnt(5)
	;; [unrolled: 3-line block ×5, first 2 shown]
	v_add_f64 v[32:33], v[93:94], -v[40:41]
	v_add_f64 v[34:35], v[95:96], -v[42:43]
	;; [unrolled: 1-line block ×6, first 2 shown]
	v_lshl_add_u32 v97, v135, 4, 0
	s_waitcnt lgkmcnt(1)
	v_add_f64 v[44:45], v[0:1], -v[56:57]
	v_add_f64 v[46:47], v[2:3], -v[58:59]
	s_waitcnt lgkmcnt(0)
	v_add_f64 v[24:25], v[4:5], -v[72:73]
	v_lshl_add_u32 v98, v150, 4, 0
	v_add_f64 v[26:27], v[6:7], -v[74:75]
	v_fma_f64 v[48:49], v[60:61], 2.0, -v[8:9]
	v_fma_f64 v[50:51], v[62:63], 2.0, -v[10:11]
	;; [unrolled: 1-line block ×16, first 2 shown]
	v_lshl_add_u32 v99, v151, 4, 0
	v_fma_f64 v[81:82], v[0:1], 2.0, -v[44:45]
	v_fma_f64 v[83:84], v[2:3], 2.0, -v[46:47]
	;; [unrolled: 1-line block ×4, first 2 shown]
	s_barrier
	buffer_gl0_inv
	ds_write_b128 v157, v[8:11] offset:32
	ds_write_b128 v157, v[48:51]
	ds_write_b128 v159, v[52:55]
	ds_write_b128 v159, v[12:15] offset:32
	ds_write_b128 v160, v[56:59]
	ds_write_b128 v160, v[16:19] offset:32
	ds_write_b128 v161, v[60:63]
	ds_write_b128 v161, v[20:23] offset:32
	ds_write_b128 v162, v[72:75]
	ds_write_b128 v162, v[28:31] offset:32
	ds_write_b128 v163, v[76:79]
	ds_write_b128 v163, v[32:35] offset:32
	ds_write_b128 v164, v[64:67]
	ds_write_b128 v164, v[36:39] offset:32
	ds_write_b128 v97, v[68:71]
	ds_write_b128 v97, v[40:43] offset:32
	ds_write_b128 v98, v[81:84]
	ds_write_b128 v98, v[44:47] offset:32
	ds_write_b128 v99, v[0:3]
	ds_write_b128 v99, v[24:27] offset:32
	s_waitcnt lgkmcnt(0)
	s_barrier
	buffer_gl0_inv
	ds_read_b128 v[20:23], v152
	ds_read_b128 v[32:35], v152 offset:6720
	ds_read_b128 v[72:75], v152 offset:7728
	;; [unrolled: 1-line block ×3, first 2 shown]
	ds_read_b128 v[16:19], v155
	ds_read_b128 v[12:15], v130
	;; [unrolled: 1-line block ×4, first 2 shown]
	ds_read_b128 v[76:79], v152 offset:14448
	ds_read_b128 v[60:63], v152 offset:15456
	;; [unrolled: 1-line block ×8, first 2 shown]
	ds_read_b128 v[28:31], v156
	ds_read_b128 v[48:51], v152 offset:18480
	v_sub_nc_u32_e32 v81, 0, v115
                                        ; implicit-def: $vgpr82_vgpr83
	v_add_nc_u32_e32 v157, v80, v81
	s_and_saveexec_b32 s1, s0
	s_cbranch_execz .LBB0_15
; %bb.14:
	ds_read_b128 v[0:3], v157
	ds_read_b128 v[24:27], v152 offset:12768
	ds_read_b128 v[80:83], v152 offset:19488
.LBB0_15:
	s_or_b32 exec_lo, exec_lo, s1
	v_and_b32_e32 v125, 3, v138
	v_and_b32_e32 v126, 3, v149
	;; [unrolled: 1-line block ×5, first 2 shown]
	v_lshlrev_b32_e32 v88, 5, v125
	v_lshlrev_b32_e32 v92, 5, v126
	v_and_b32_e32 v124, 3, v145
	v_lshlrev_b32_e32 v93, 5, v127
	v_lshlrev_b32_e32 v112, 5, v133
	s_clause 0x3
	global_load_dwordx4 v[84:87], v88, s[8:9] offset:32
	global_load_dwordx4 v[88:91], v88, s[8:9] offset:48
	;; [unrolled: 1-line block ×4, first 2 shown]
	v_lshlrev_b32_e32 v128, 5, v134
	v_lshlrev_b32_e32 v135, 5, v124
	s_clause 0x3
	global_load_dwordx4 v[104:107], v93, s[8:9] offset:32
	global_load_dwordx4 v[92:95], v93, s[8:9] offset:48
	;; [unrolled: 1-line block ×4, first 2 shown]
	v_lshrrev_b32_e32 v150, 2, v138
	s_clause 0x3
	global_load_dwordx4 v[129:132], v128, s[8:9] offset:32
	global_load_dwordx4 v[159:162], v128, s[8:9] offset:48
	;; [unrolled: 1-line block ×4, first 2 shown]
	v_lshrrev_b32_e32 v135, 2, v136
	v_lshrrev_b32_e32 v151, 2, v149
	;; [unrolled: 1-line block ×5, first 2 shown]
	v_sub_nc_u32_e32 v128, 0, v121
	v_sub_nc_u32_e32 v121, 0, v123
	v_mul_u32_u24_e32 v123, 12, v135
	v_mul_lo_u32 v135, v150, 12
	v_mul_lo_u32 v150, v151, 12
	;; [unrolled: 1-line block ×5, first 2 shown]
	v_or_b32_e32 v123, v123, v133
	s_mov_b32 s4, 0xe8584caa
	s_mov_b32 s5, 0xbfebb67a
	v_or_b32_e32 v135, v135, v125
	v_or_b32_e32 v150, v150, v126
	;; [unrolled: 1-line block ×5, first 2 shown]
	s_mov_b32 s7, 0x3febb67a
	v_lshl_add_u32 v187, v150, 4, 0
	s_mov_b32 s6, s4
	v_sub_nc_u32_e32 v122, 0, v122
	v_lshl_add_u32 v123, v123, 4, 0
	v_lshl_add_u32 v135, v135, 4, 0
	s_waitcnt vmcnt(0) lgkmcnt(0)
	s_barrier
	buffer_gl0_inv
	v_mul_f64 v[125:126], v[74:75], v[86:87]
	v_mul_f64 v[86:87], v[72:73], v[86:87]
	;; [unrolled: 1-line block ×16, first 2 shown]
	v_fma_f64 v[72:73], v[72:73], v[84:85], v[125:126]
	v_fma_f64 v[74:75], v[74:75], v[84:85], -v[86:87]
	v_mul_f64 v[84:85], v[38:39], v[98:99]
	v_mul_f64 v[86:87], v[36:37], v[98:99]
	;; [unrolled: 1-line block ×4, first 2 shown]
	v_fma_f64 v[76:77], v[76:77], v[88:89], v[133:134]
	v_fma_f64 v[64:65], v[64:65], v[108:109], v[150:151]
	v_fma_f64 v[66:67], v[66:67], v[108:109], -v[110:111]
	v_mul_f64 v[108:109], v[26:27], v[165:166]
	v_mul_f64 v[110:111], v[24:25], v[165:166]
	;; [unrolled: 1-line block ×4, first 2 shown]
	v_fma_f64 v[78:79], v[78:79], v[88:89], -v[90:91]
	v_mul_f64 v[88:89], v[46:47], v[131:132]
	v_mul_f64 v[90:91], v[44:45], v[131:132]
	;; [unrolled: 1-line block ×4, first 2 shown]
	v_fma_f64 v[32:33], v[32:33], v[96:97], v[177:178]
	v_fma_f64 v[34:35], v[34:35], v[96:97], -v[179:180]
	v_fma_f64 v[68:69], v[68:69], v[112:113], v[181:182]
	v_fma_f64 v[70:71], v[70:71], v[112:113], -v[183:184]
	;; [unrolled: 2-line block ×6, first 2 shown]
	v_fma_f64 v[56:57], v[56:57], v[92:93], v[175:176]
	v_fma_f64 v[24:25], v[24:25], v[163:164], v[108:109]
	v_fma_f64 v[26:27], v[26:27], v[163:164], -v[110:111]
	v_fma_f64 v[80:81], v[80:81], v[167:168], v[133:134]
	v_fma_f64 v[82:83], v[82:83], v[167:168], -v[150:151]
	v_fma_f64 v[58:59], v[58:59], v[92:93], -v[94:95]
	v_fma_f64 v[44:45], v[44:45], v[129:130], v[88:89]
	v_fma_f64 v[46:47], v[46:47], v[129:130], -v[90:91]
	v_fma_f64 v[48:49], v[48:49], v[159:160], v[125:126]
	v_fma_f64 v[50:51], v[50:51], v[159:160], -v[131:132]
	v_add_f64 v[84:85], v[20:21], v[32:33]
	v_add_f64 v[86:87], v[22:23], v[34:35]
	;; [unrolled: 1-line block ×4, first 2 shown]
	v_add_f64 v[96:97], v[34:35], -v[70:71]
	v_add_f64 v[98:99], v[32:33], -v[68:69]
	v_add_f64 v[32:33], v[72:73], v[76:77]
	v_add_f64 v[34:35], v[74:75], v[78:79]
	;; [unrolled: 1-line block ×16, first 2 shown]
	v_add_f64 v[150:151], v[54:55], -v[58:59]
	v_add_f64 v[161:162], v[38:39], -v[42:43]
	v_add_f64 v[38:39], v[44:45], v[48:49]
	v_add_f64 v[54:55], v[46:47], v[50:51]
	v_add_f64 v[74:75], v[74:75], -v[78:79]
	v_add_f64 v[72:73], v[72:73], -v[76:77]
	v_add_f64 v[108:109], v[12:13], v[52:53]
	v_add_f64 v[125:126], v[8:9], v[36:37]
	;; [unrolled: 4-line block ×3, first 2 shown]
	v_add_f64 v[165:166], v[0:1], v[24:25]
	v_add_f64 v[169:170], v[2:3], v[26:27]
	v_add_f64 v[173:174], v[46:47], -v[50:51]
	v_add_f64 v[175:176], v[44:45], -v[48:49]
	;; [unrolled: 1-line block ×4, first 2 shown]
	v_add_f64 v[24:25], v[84:85], v[68:69]
	v_add_f64 v[26:27], v[86:87], v[70:71]
	v_fma_f64 v[44:45], v[88:89], -0.5, v[20:21]
	v_fma_f64 v[46:47], v[90:91], -0.5, v[22:23]
	;; [unrolled: 1-line block ×8, first 2 shown]
	v_add_f64 v[66:67], v[66:67], -v[62:63]
	v_add_f64 v[64:65], v[64:65], -v[60:61]
	v_add_f64 v[28:29], v[100:101], v[60:61]
	v_add_f64 v[30:31], v[102:103], v[62:63]
	v_fma_f64 v[60:61], v[104:105], -0.5, v[16:17]
	v_fma_f64 v[62:63], v[106:107], -0.5, v[18:19]
	v_add_f64 v[20:21], v[92:93], v[76:77]
	v_add_f64 v[22:23], v[94:95], v[78:79]
	v_fma_f64 v[76:77], v[112:113], -0.5, v[12:13]
	v_fma_f64 v[78:79], v[114:115], -0.5, v[14:15]
	;; [unrolled: 1-line block ×4, first 2 shown]
	v_add_f64 v[12:13], v[125:126], v[40:41]
	v_add_f64 v[14:15], v[129:130], v[42:43]
	v_add_f64 v[32:33], v[36:37], v[48:49]
	v_add_f64 v[34:35], v[52:53], v[50:51]
	v_add_f64 v[4:5], v[165:166], v[80:81]
	v_add_f64 v[6:7], v[169:170], v[82:83]
	v_fma_f64 v[36:37], v[96:97], s[4:5], v[44:45]
	v_fma_f64 v[40:41], v[96:97], s[6:7], v[44:45]
	;; [unrolled: 1-line block ×18, first 2 shown]
	v_add_f64 v[16:17], v[108:109], v[56:57]
	v_add_f64 v[18:19], v[110:111], v[58:59]
	v_fma_f64 v[56:57], v[66:67], s[6:7], v[60:61]
	v_fma_f64 v[58:59], v[64:65], s[4:5], v[62:63]
	;; [unrolled: 1-line block ×10, first 2 shown]
	v_lshl_add_u32 v84, v127, 4, 0
	v_lshl_add_u32 v85, v185, 4, 0
	;; [unrolled: 1-line block ×3, first 2 shown]
	ds_write_b128 v123, v[24:27]
	ds_write_b128 v123, v[36:39] offset:64
	ds_write_b128 v123, v[40:43] offset:128
	ds_write_b128 v135, v[20:23]
	ds_write_b128 v135, v[44:47] offset:64
	ds_write_b128 v135, v[48:51] offset:128
	;; [unrolled: 3-line block ×6, first 2 shown]
	s_and_saveexec_b32 s1, s0
	s_cbranch_execz .LBB0_17
; %bb.16:
	v_lshrrev_b32_e32 v12, 2, v145
	v_mul_lo_u32 v12, v12, 12
	v_or_b32_e32 v12, v12, v124
	v_lshl_add_u32 v12, v12, 4, 0
	ds_write_b128 v12, v[4:7]
	ds_write_b128 v12, v[0:3] offset:64
	ds_write_b128 v12, v[8:11] offset:128
.LBB0_17:
	s_or_b32 exec_lo, exec_lo, s1
	v_add_nc_u32_e32 v160, v119, v122
	s_waitcnt lgkmcnt(0)
	s_barrier
	buffer_gl0_inv
	ds_read_b128 v[12:15], v152
	ds_read_b128 v[76:79], v152 offset:6720
	v_add_nc_u32_e32 v161, v118, v128
	ds_read_b128 v[72:75], v152 offset:7728
	ds_read_b128 v[64:67], v152 offset:8736
	;; [unrolled: 1-line block ×4, first 2 shown]
	ds_read_b128 v[20:23], v155
	ds_read_b128 v[16:19], v161
	v_add_nc_u32_e32 v159, v120, v121
	ds_read_b128 v[56:59], v152 offset:9744
	ds_read_b128 v[40:43], v152 offset:10752
	;; [unrolled: 1-line block ×4, first 2 shown]
	ds_read_b128 v[28:31], v160
	ds_read_b128 v[24:27], v159
	ds_read_b128 v[80:83], v152 offset:13440
	ds_read_b128 v[48:51], v152 offset:11760
	ds_read_b128 v[32:35], v156
	ds_read_b128 v[52:55], v152 offset:18480
	s_and_saveexec_b32 s1, s0
	s_cbranch_execz .LBB0_19
; %bb.18:
	ds_read_b128 v[4:7], v157
	ds_read_b128 v[0:3], v152 offset:12768
	ds_read_b128 v[8:11], v152 offset:19488
.LBB0_19:
	s_or_b32 exec_lo, exec_lo, s1
	v_and_b32_e32 v84, 0xff, v136
	v_and_b32_e32 v86, 0xff, v138
	v_mov_b32_e32 v88, 5
	v_mov_b32_e32 v105, 0xaaab
	;; [unrolled: 1-line block ×3, first 2 shown]
	v_mul_lo_u16 v84, 0xab, v84
	v_mul_lo_u16 v85, 0xab, v86
	s_mov_b32 s6, 0xe8584caa
	v_mul_u32_u24_sdwa v101, v147, v105 dst_sel:DWORD dst_unused:UNUSED_PAD src0_sel:WORD_0 src1_sel:DWORD
	v_mul_u32_u24_sdwa v106, v146, v105 dst_sel:DWORD dst_unused:UNUSED_PAD src0_sel:WORD_0 src1_sel:DWORD
	v_lshrrev_b16 v91, 11, v84
	v_lshrrev_b16 v92, 11, v85
	v_and_b32_e32 v85, 0xff, v149
	v_lshrrev_b32_e32 v150, 19, v101
	v_lshrrev_b32_e32 v162, 19, v106
	v_mul_lo_u16 v84, v91, 12
	v_mul_lo_u16 v89, v92, 12
	;; [unrolled: 1-line block ×4, first 2 shown]
	v_mul_u32_u24_sdwa v188, v92, v187 dst_sel:DWORD dst_unused:UNUSED_PAD src0_sel:WORD_0 src1_sel:DWORD
	v_sub_nc_u16 v90, v136, v84
	v_and_b32_e32 v84, 0xff, v148
	v_lshrrev_b16 v134, 11, v97
	v_sub_nc_u16 v115, v138, v89
	v_sub_nc_u16 v185, v147, v110
	v_lshlrev_b32_sdwa v87, v88, v90 dst_sel:DWORD dst_unused:UNUSED_PAD src0_sel:DWORD src1_sel:BYTE_0
	v_mul_lo_u16 v89, 0xab, v84
	v_mul_lo_u16 v107, v134, 12
	v_mul_u32_u24_e32 v190, 0x240, v150
	v_lshlrev_b32_sdwa v163, v88, v185 dst_sel:DWORD dst_unused:UNUSED_PAD src0_sel:DWORD src1_sel:WORD_0
	s_clause 0x1
	global_load_dwordx4 v[93:96], v87, s[8:9] offset:160
	global_load_dwordx4 v[97:100], v87, s[8:9] offset:176
	v_lshrrev_b16 v135, 11, v89
	v_sub_nc_u16 v151, v149, v107
	v_lshlrev_b32_sdwa v87, v88, v115 dst_sel:DWORD dst_unused:UNUSED_PAD src0_sel:DWORD src1_sel:BYTE_0
	v_mul_u32_u24_sdwa v89, v145, v105 dst_sel:DWORD dst_unused:UNUSED_PAD src0_sel:WORD_0 src1_sel:DWORD
	global_load_dwordx4 v[130:133], v163, s[8:9] offset:160
	v_mul_lo_u16 v109, v135, 12
	v_lshlrev_b32_sdwa v113, v88, v151 dst_sel:DWORD dst_unused:UNUSED_PAD src0_sel:DWORD src1_sel:BYTE_0
	s_clause 0x1
	global_load_dwordx4 v[101:104], v87, s[8:9] offset:160
	global_load_dwordx4 v[105:108], v87, s[8:9] offset:176
	v_lshrrev_b32_e32 v87, 19, v89
	v_sub_nc_u16 v184, v148, v109
	s_clause 0x1
	global_load_dwordx4 v[109:112], v113, s[8:9] offset:160
	global_load_dwordx4 v[118:121], v113, s[8:9] offset:176
	v_mul_lo_u16 v89, v162, 12
	v_mul_lo_u16 v113, v87, 12
	v_lshlrev_b32_sdwa v114, v88, v184 dst_sel:DWORD dst_unused:UNUSED_PAD src0_sel:DWORD src1_sel:BYTE_0
	v_mul_u32_u24_sdwa v189, v134, v187 dst_sel:DWORD dst_unused:UNUSED_PAD src0_sel:WORD_0 src1_sel:DWORD
	s_mov_b32 s7, 0xbfebb67a
	v_sub_nc_u16 v186, v146, v89
	v_sub_nc_u16 v89, v145, v113
	s_clause 0x1
	global_load_dwordx4 v[122:125], v114, s[8:9] offset:160
	global_load_dwordx4 v[126:129], v114, s[8:9] offset:176
	s_mov_b32 s5, 0x3febb67a
	v_lshlrev_b32_sdwa v113, v88, v186 dst_sel:DWORD dst_unused:UNUSED_PAD src0_sel:DWORD src1_sel:WORD_0
	v_lshlrev_b32_sdwa v88, v88, v89 dst_sel:DWORD dst_unused:UNUSED_PAD src0_sel:DWORD src1_sel:WORD_0
	s_clause 0x4
	global_load_dwordx4 v[164:167], v163, s[8:9] offset:176
	global_load_dwordx4 v[168:171], v113, s[8:9] offset:160
	;; [unrolled: 1-line block ×5, first 2 shown]
	v_mov_b32_e32 v163, 4
	v_sub_nc_u32_e32 v88, 0, v117
	v_mul_u32_u24_sdwa v117, v91, v187 dst_sel:DWORD dst_unused:UNUSED_PAD src0_sel:WORD_0 src1_sel:DWORD
	v_mul_u32_u24_sdwa v187, v135, v187 dst_sel:DWORD dst_unused:UNUSED_PAD src0_sel:WORD_0 src1_sel:DWORD
	s_mov_b32 s4, s6
	v_lshlrev_b32_sdwa v191, v163, v151 dst_sel:DWORD dst_unused:UNUSED_PAD src0_sel:DWORD src1_sel:BYTE_0
	v_lshlrev_b32_sdwa v90, v163, v90 dst_sel:DWORD dst_unused:UNUSED_PAD src0_sel:DWORD src1_sel:BYTE_0
	;; [unrolled: 1-line block ×3, first 2 shown]
	v_mul_u32_u24_e32 v162, 0x240, v162
	v_lshlrev_b32_sdwa v184, v163, v184 dst_sel:DWORD dst_unused:UNUSED_PAD src0_sel:DWORD src1_sel:BYTE_0
	v_lshlrev_b32_sdwa v185, v163, v185 dst_sel:DWORD dst_unused:UNUSED_PAD src0_sel:DWORD src1_sel:WORD_0
	v_add3_u32 v192, 0, v117, v90
	v_lshlrev_b32_sdwa v186, v163, v186 dst_sel:DWORD dst_unused:UNUSED_PAD src0_sel:DWORD src1_sel:WORD_0
	v_add3_u32 v115, 0, v188, v115
	s_waitcnt vmcnt(0) lgkmcnt(0)
	s_barrier
	buffer_gl0_inv
	v_mul_f64 v[113:114], v[78:79], v[95:96]
	v_mul_f64 v[95:96], v[76:77], v[95:96]
	;; [unrolled: 1-line block ×8, first 2 shown]
	v_fma_f64 v[76:77], v[76:77], v[93:94], v[113:114]
	v_fma_f64 v[78:79], v[78:79], v[93:94], -v[95:96]
	v_mul_f64 v[93:94], v[66:67], v[111:112]
	v_mul_f64 v[95:96], v[64:65], v[111:112]
	;; [unrolled: 1-line block ×4, first 2 shown]
	v_fma_f64 v[80:81], v[80:81], v[97:98], v[91:92]
	v_fma_f64 v[82:83], v[82:83], v[97:98], -v[99:100]
	v_mul_f64 v[90:91], v[58:59], v[124:125]
	v_mul_f64 v[97:98], v[56:57], v[124:125]
	v_fma_f64 v[68:69], v[68:69], v[105:106], v[150:151]
	v_mul_f64 v[150:151], v[8:9], v[182:183]
	v_mul_f64 v[99:100], v[62:63], v[128:129]
	;; [unrolled: 1-line block ×3, first 2 shown]
	v_fma_f64 v[72:73], v[72:73], v[101:102], v[134:135]
	v_fma_f64 v[74:75], v[74:75], v[101:102], -v[103:104]
	v_mul_f64 v[101:102], v[42:43], v[132:133]
	v_mul_f64 v[103:104], v[40:41], v[132:133]
	;; [unrolled: 1-line block ×4, first 2 shown]
	v_fma_f64 v[70:71], v[70:71], v[105:106], -v[107:108]
	v_mul_f64 v[105:106], v[50:51], v[170:171]
	v_mul_f64 v[107:108], v[48:49], v[170:171]
	;; [unrolled: 1-line block ×3, first 2 shown]
	v_fma_f64 v[64:65], v[64:65], v[109:110], v[93:94]
	v_fma_f64 v[66:67], v[66:67], v[109:110], -v[95:96]
	v_mul_f64 v[92:93], v[2:3], v[178:179]
	v_mul_f64 v[94:95], v[0:1], v[178:179]
	;; [unrolled: 1-line block ×4, first 2 shown]
	v_fma_f64 v[111:112], v[36:37], v[118:119], v[111:112]
	v_fma_f64 v[113:114], v[38:39], v[118:119], -v[113:114]
	v_fma_f64 v[56:57], v[56:57], v[122:123], v[90:91]
	v_fma_f64 v[10:11], v[10:11], v[180:181], -v[150:151]
	v_fma_f64 v[58:59], v[58:59], v[122:123], -v[97:98]
	v_fma_f64 v[60:61], v[60:61], v[126:127], v[99:100]
	v_fma_f64 v[62:63], v[62:63], v[126:127], -v[120:121]
	v_add_f64 v[98:99], v[72:73], v[68:69]
	v_fma_f64 v[40:41], v[40:41], v[130:131], v[101:102]
	v_fma_f64 v[42:43], v[42:43], v[130:131], -v[103:104]
	v_fma_f64 v[90:91], v[44:45], v[164:165], v[124:125]
	v_fma_f64 v[96:97], v[46:47], v[164:165], -v[128:129]
	v_add_f64 v[100:101], v[74:75], -v[70:71]
	v_fma_f64 v[44:45], v[48:49], v[168:169], v[105:106]
	v_fma_f64 v[46:47], v[50:51], v[168:169], -v[107:108]
	v_fma_f64 v[52:53], v[52:53], v[172:173], v[132:133]
	v_add_f64 v[48:49], v[76:77], v[80:81]
	v_add_f64 v[50:51], v[78:79], v[82:83]
	v_fma_f64 v[36:37], v[0:1], v[176:177], v[92:93]
	v_fma_f64 v[38:39], v[2:3], v[176:177], -v[94:95]
	v_fma_f64 v[8:9], v[8:9], v[180:181], v[109:110]
	v_fma_f64 v[54:55], v[54:55], v[172:173], -v[134:135]
	v_add_f64 v[0:1], v[12:13], v[76:77]
	v_add_f64 v[2:3], v[14:15], v[78:79]
	;; [unrolled: 1-line block ×6, first 2 shown]
	v_add_f64 v[106:107], v[66:67], -v[113:114]
	v_add_f64 v[108:109], v[22:23], v[66:67]
	v_add_f64 v[66:67], v[66:67], v[113:114]
	;; [unrolled: 1-line block ×4, first 2 shown]
	v_add_f64 v[123:124], v[58:59], -v[62:63]
	v_add_f64 v[58:59], v[58:59], v[62:63]
	v_add_f64 v[125:126], v[28:29], v[40:41]
	;; [unrolled: 1-line block ×10, first 2 shown]
	v_add_f64 v[78:79], v[78:79], -v[82:83]
	v_add_f64 v[76:77], v[76:77], -v[80:81]
	v_add_f64 v[133:134], v[24:25], v[44:45]
	v_add_f64 v[164:165], v[26:27], v[46:47]
	v_add_f64 v[174:175], v[42:43], -v[96:97]
	v_add_f64 v[176:177], v[40:41], -v[90:91]
	;; [unrolled: 1-line block ×6, first 2 shown]
	v_add_f64 v[44:45], v[0:1], v[80:81]
	v_add_f64 v[46:47], v[2:3], v[82:83]
	v_fma_f64 v[0:1], v[48:49], -0.5, v[12:13]
	v_fma_f64 v[2:3], v[50:51], -0.5, v[14:15]
	v_add_f64 v[72:73], v[72:73], -v[68:69]
	v_add_f64 v[48:49], v[92:93], v[68:69]
	v_add_f64 v[50:51], v[94:95], v[70:71]
	v_fma_f64 v[68:69], v[98:99], -0.5, v[32:33]
	v_fma_f64 v[70:71], v[74:75], -0.5, v[34:35]
	;; [unrolled: 1-line block ×4, first 2 shown]
	v_add_f64 v[117:118], v[64:65], -v[111:112]
	v_add_f64 v[64:65], v[16:17], v[56:57]
	v_fma_f64 v[74:75], v[104:105], -0.5, v[20:21]
	v_fma_f64 v[80:81], v[66:67], -0.5, v[22:23]
	v_add_f64 v[172:173], v[56:57], -v[60:61]
	v_fma_f64 v[82:83], v[119:120], -0.5, v[16:17]
	v_fma_f64 v[92:93], v[58:59], -0.5, v[18:19]
	v_add_f64 v[16:17], v[125:126], v[90:91]
	v_fma_f64 v[90:91], v[127:128], -0.5, v[28:29]
	v_fma_f64 v[94:95], v[131:132], -0.5, v[30:31]
	v_add_f64 v[32:33], v[102:103], v[111:112]
	v_add_f64 v[18:19], v[129:130], v[96:97]
	v_fma_f64 v[96:97], v[150:151], -0.5, v[24:25]
	v_fma_f64 v[102:103], v[166:167], -0.5, v[26:27]
	v_add_f64 v[28:29], v[133:134], v[52:53]
	v_add_f64 v[30:31], v[164:165], v[54:55]
	v_fma_f64 v[24:25], v[78:79], s[6:7], v[0:1]
	v_fma_f64 v[52:53], v[78:79], s[4:5], v[0:1]
	;; [unrolled: 1-line block ×8, first 2 shown]
	v_add_f64 v[22:23], v[121:122], v[62:63]
	v_add_f64 v[20:21], v[64:65], v[60:61]
	v_fma_f64 v[60:61], v[100:101], s[4:5], v[68:69]
	v_fma_f64 v[62:63], v[72:73], s[6:7], v[70:71]
	v_add_f64 v[34:35], v[108:109], v[113:114]
	v_fma_f64 v[64:65], v[106:107], s[6:7], v[74:75]
	v_fma_f64 v[66:67], v[117:118], s[4:5], v[80:81]
	;; [unrolled: 1-line block ×16, first 2 shown]
	v_add3_u32 v182, 0, v189, v191
	v_add3_u32 v102, 0, v187, v184
	;; [unrolled: 1-line block ×4, first 2 shown]
	ds_write_b128 v192, v[44:47]
	ds_write_b128 v192, v[24:27] offset:192
	ds_write_b128 v192, v[52:55] offset:384
	ds_write_b128 v115, v[48:51]
	ds_write_b128 v115, v[56:59] offset:192
	ds_write_b128 v115, v[60:63] offset:384
	;; [unrolled: 3-line block ×6, first 2 shown]
	s_and_saveexec_b32 s1, s0
	s_cbranch_execz .LBB0_21
; %bb.20:
	v_add_f64 v[18:19], v[6:7], v[38:39]
	v_add_f64 v[4:5], v[4:5], v[36:37]
	v_mul_f64 v[16:17], v[42:43], s[4:5]
	v_mul_f64 v[20:21], v[40:41], s[4:5]
	v_add_f64 v[10:11], v[18:19], v[10:11]
	v_add_f64 v[8:9], v[4:5], v[8:9]
	;; [unrolled: 1-line block ×3, first 2 shown]
	v_add_f64 v[4:5], v[12:13], -v[20:21]
	v_mul_lo_u16 v12, v87, 36
	v_lshlrev_b32_sdwa v13, v163, v89 dst_sel:DWORD dst_unused:UNUSED_PAD src0_sel:DWORD src1_sel:WORD_0
	v_lshlrev_b32_sdwa v12, v163, v12 dst_sel:DWORD dst_unused:UNUSED_PAD src0_sel:DWORD src1_sel:WORD_0
	v_add3_u32 v12, 0, v13, v12
	ds_write_b128 v12, v[8:11]
	ds_write_b128 v12, v[4:7] offset:192
	ds_write_b128 v12, v[0:3] offset:384
.LBB0_21:
	s_or_b32 exec_lo, exec_lo, s1
	v_mul_lo_u16 v4, v86, 57
	v_cmp_gt_u32_e64 s0, 36, v136
	v_mul_lo_u16 v7, v84, 57
	v_mov_b32_e32 v151, 0
	v_mov_b32_e32 v5, 6
	v_lshrrev_b16 v164, 11, v4
	v_mul_lo_u16 v4, v85, 57
	v_lshrrev_b16 v167, 11, v7
	s_waitcnt lgkmcnt(0)
	s_barrier
	v_mul_lo_u16 v6, v164, 36
	v_lshrrev_b16 v166, 11, v4
	v_mul_lo_u16 v8, v167, 36
	buffer_gl0_inv
	v_add_nc_u32_e32 v162, v116, v88
	v_sub_nc_u16 v165, v138, v6
	v_subrev_nc_u32_e32 v6, 36, v136
	v_mul_lo_u16 v4, v166, 36
	v_sub_nc_u16 v169, v148, v8
	s_mov_b32 s10, 0x134454ff
	v_lshlrev_b32_sdwa v7, v5, v165 dst_sel:DWORD dst_unused:UNUSED_PAD src0_sel:DWORD src1_sel:BYTE_0
	v_cndmask_b32_e64 v170, v6, v136, s0
	v_sub_nc_u16 v168, v149, v4
	v_lshlrev_b32_sdwa v38, v5, v169 dst_sel:DWORD dst_unused:UNUSED_PAD src0_sel:DWORD src1_sel:BYTE_0
	v_lshlrev_b32_sdwa v179, v163, v165 dst_sel:DWORD dst_unused:UNUSED_PAD src0_sel:DWORD src1_sel:BYTE_0
	s_clause 0x1
	global_load_dwordx4 v[28:31], v7, s[8:9] offset:544
	global_load_dwordx4 v[24:27], v7, s[8:9] offset:560
	v_lshlrev_b32_e32 v150, 2, v170
	v_lshlrev_b32_sdwa v4, v5, v168 dst_sel:DWORD dst_unused:UNUSED_PAD src0_sel:DWORD src1_sel:BYTE_0
	s_clause 0x2
	global_load_dwordx4 v[20:23], v7, s[8:9] offset:576
	global_load_dwordx4 v[16:19], v7, s[8:9] offset:592
	;; [unrolled: 1-line block ×3, first 2 shown]
	v_lshlrev_b64 v[36:37], 4, v[150:151]
	s_clause 0x4
	global_load_dwordx4 v[8:11], v4, s[8:9] offset:560
	global_load_dwordx4 v[32:35], v4, s[8:9] offset:576
	;; [unrolled: 1-line block ×5, first 2 shown]
	v_mov_b32_e32 v150, 0xb40
	v_lshlrev_b32_e32 v178, 4, v170
	v_lshlrev_b32_sdwa v180, v163, v168 dst_sel:DWORD dst_unused:UNUSED_PAD src0_sel:DWORD src1_sel:BYTE_0
	v_add_co_u32 v36, s0, s8, v36
	v_add_co_ci_u32_e64 v37, s0, s9, v37, s0
	s_clause 0x5
	global_load_dwordx4 v[64:67], v38, s[8:9] offset:576
	global_load_dwordx4 v[60:63], v38, s[8:9] offset:592
	global_load_dwordx4 v[52:55], v[36:37], off offset:544
	global_load_dwordx4 v[48:51], v[36:37], off offset:560
	;; [unrolled: 1-line block ×4, first 2 shown]
	ds_read_b128 v[72:75], v152 offset:9072
	ds_read_b128 v[68:71], v152 offset:10080
	;; [unrolled: 1-line block ×13, first 2 shown]
	ds_read_b128 v[100:103], v156
	ds_read_b128 v[104:107], v155
	;; [unrolled: 1-line block ×3, first 2 shown]
	ds_read_b128 v[132:135], v152 offset:5040
	ds_read_b128 v[171:174], v152
	v_mul_u32_u24_sdwa v176, v164, v150 dst_sel:DWORD dst_unused:UNUSED_PAD src0_sel:WORD_0 src1_sel:DWORD
	v_mul_u32_u24_sdwa v177, v166, v150 dst_sel:DWORD dst_unused:UNUSED_PAD src0_sel:WORD_0 src1_sel:DWORD
	;; [unrolled: 1-line block ×3, first 2 shown]
	v_lshlrev_b32_sdwa v181, v163, v169 dst_sel:DWORD dst_unused:UNUSED_PAD src0_sel:DWORD src1_sel:BYTE_0
	ds_read_b128 v[163:166], v160
	ds_read_b128 v[167:170], v162
	v_cmp_lt_u32_e64 s0, 35, v136
	v_add3_u32 v240, 0, v176, v179
	v_add3_u32 v241, 0, v177, v180
	;; [unrolled: 1-line block ×3, first 2 shown]
	s_mov_b32 s11, 0xbfee6f0e
	v_cndmask_b32_e64 v175, 0, 0xb40, s0
	s_mov_b32 s13, 0x3fee6f0e
	s_mov_b32 s12, s10
	;; [unrolled: 1-line block ×4, first 2 shown]
	v_add3_u32 v239, 0, v175, v178
	s_mov_b32 s5, 0x3fe2cf23
	s_mov_b32 s4, s0
	;; [unrolled: 1-line block ×4, first 2 shown]
	s_waitcnt vmcnt(0) lgkmcnt(0)
	s_barrier
	buffer_gl0_inv
	v_mul_f64 v[175:176], v[134:135], v[30:31]
	v_mul_f64 v[30:31], v[132:133], v[30:31]
	;; [unrolled: 1-line block ×32, first 2 shown]
	v_fma_f64 v[132:133], v[132:133], v[28:29], v[175:176]
	v_fma_f64 v[28:29], v[134:135], v[28:29], -v[30:31]
	v_fma_f64 v[30:31], v[72:73], v[24:25], v[177:178]
	v_fma_f64 v[24:25], v[74:75], v[24:25], -v[26:27]
	;; [unrolled: 2-line block ×16, first 2 shown]
	v_add_f64 v[36:37], v[102:103], v[28:29]
	v_add_f64 v[66:67], v[100:101], v[132:133]
	;; [unrolled: 1-line block ×5, first 2 shown]
	v_add_f64 v[76:77], v[132:133], -v[30:31]
	v_add_f64 v[78:79], v[22:23], -v[26:27]
	v_add_f64 v[82:83], v[24:25], v[20:21]
	v_add_f64 v[84:85], v[28:29], v[16:17]
	v_add_f64 v[86:87], v[30:31], -v[132:133]
	v_add_f64 v[88:89], v[98:99], v[34:35]
	v_add_f64 v[92:93], v[26:27], -v[22:23]
	v_add_f64 v[94:95], v[14:15], v[10:11]
	v_add_f64 v[110:111], v[8:9], v[32:33]
	;; [unrolled: 1-line block ×3, first 2 shown]
	v_add_f64 v[114:115], v[28:29], -v[24:25]
	v_add_f64 v[116:117], v[16:17], -v[20:21]
	;; [unrolled: 1-line block ×6, first 2 shown]
	v_add_f64 v[207:208], v[54:55], v[50:51]
	v_add_f64 v[211:212], v[48:49], v[40:41]
	;; [unrolled: 1-line block ×7, first 2 shown]
	v_add_f64 v[189:190], v[34:35], -v[46:47]
	v_add_f64 v[193:194], v[46:47], -v[34:35]
	;; [unrolled: 1-line block ×5, first 2 shown]
	v_add_f64 v[209:210], v[62:63], v[42:43]
	v_add_f64 v[213:214], v[52:53], v[38:39]
	v_add_f64 v[215:216], v[171:172], v[62:63]
	v_add_f64 v[118:119], v[44:45], v[56:57]
	v_add_f64 v[122:123], v[46:47], v[58:59]
	v_add_f64 v[120:121], v[6:7], v[64:65]
	v_add_f64 v[128:129], v[20:21], -v[16:17]
	v_add_f64 v[130:131], v[18:19], -v[14:15]
	;; [unrolled: 1-line block ×20, first 2 shown]
	v_add_f64 v[24:25], v[36:37], v[24:25]
	v_add_f64 v[30:31], v[66:67], v[30:31]
	;; [unrolled: 1-line block ×4, first 2 shown]
	v_fma_f64 v[36:37], v[70:71], -0.5, v[100:101]
	v_fma_f64 v[70:71], v[82:83], -0.5, v[102:103]
	v_fma_f64 v[72:73], v[84:85], -0.5, v[102:103]
	v_add_f64 v[46:47], v[88:89], v[46:47]
	v_fma_f64 v[74:75], v[94:95], -0.5, v[104:105]
	v_fma_f64 v[82:83], v[110:111], -0.5, v[106:107]
	;; [unrolled: 1-line block ×3, first 2 shown]
	v_add_f64 v[76:77], v[76:77], v[78:79]
	v_add_f64 v[78:79], v[86:87], v[92:93]
	;; [unrolled: 1-line block ×4, first 2 shown]
	v_fma_f64 v[28:29], v[207:208], -0.5, v[171:172]
	v_fma_f64 v[114:115], v[211:212], -0.5, v[173:174]
	v_add_f64 v[48:49], v[217:218], v[48:49]
	v_add_f64 v[177:178], v[4:5], -v[32:33]
	v_add_f64 v[205:206], v[44:45], -v[56:57]
	;; [unrolled: 1-line block ×3, first 2 shown]
	v_fma_f64 v[66:67], v[80:81], -0.5, v[100:101]
	v_add_f64 v[44:45], v[90:91], v[44:45]
	v_fma_f64 v[80:81], v[108:109], -0.5, v[104:105]
	v_add_f64 v[108:109], v[34:35], v[203:204]
	v_fma_f64 v[34:35], v[209:210], -0.5, v[171:172]
	v_fma_f64 v[116:117], v[213:214], -0.5, v[173:174]
	v_add_f64 v[54:55], v[215:216], v[54:55]
	v_add_f64 v[134:135], v[68:69], -v[10:11]
	v_add_f64 v[18:19], v[18:19], -v[68:69]
	;; [unrolled: 1-line block ×4, first 2 shown]
	v_fma_f64 v[88:89], v[118:119], -0.5, v[96:97]
	v_fma_f64 v[94:95], v[122:123], -0.5, v[98:99]
	v_fma_f64 v[90:91], v[120:121], -0.5, v[96:97]
	v_fma_f64 v[96:97], v[124:125], -0.5, v[98:99]
	v_add_f64 v[191:192], v[60:61], -v[58:59]
	v_add_f64 v[197:198], v[58:59], -v[60:61]
	v_add_f64 v[221:222], v[42:43], -v[50:51]
	v_add_f64 v[229:230], v[38:39], -v[40:41]
	v_add_f64 v[233:234], v[40:41], -v[38:39]
	v_add_f64 v[92:93], v[126:127], v[128:129]
	v_add_f64 v[104:105], v[181:182], v[185:186]
	;; [unrolled: 1-line block ×6, first 2 shown]
	v_fma_f64 v[58:59], v[132:133], s[12:13], v[70:71]
	v_fma_f64 v[126:127], v[12:13], s[10:11], v[74:75]
	;; [unrolled: 1-line block ×3, first 2 shown]
	v_add_f64 v[40:41], v[48:49], v[40:41]
	v_fma_f64 v[48:49], v[52:53], s[10:11], v[28:29]
	v_fma_f64 v[181:182], v[62:63], s[12:13], v[114:115]
	v_add_f64 v[225:226], v[50:51], -v[42:43]
	v_add_f64 v[102:103], v[169:170], v[177:178]
	v_add_f64 v[8:9], v[8:9], v[32:33]
	;; [unrolled: 1-line block ×3, first 2 shown]
	v_fma_f64 v[46:47], v[175:176], s[12:13], v[66:67]
	v_fma_f64 v[56:57], v[175:176], s[10:11], v[66:67]
	v_fma_f64 v[66:67], v[132:133], s[10:11], v[70:71]
	v_fma_f64 v[70:71], v[167:168], s[10:11], v[72:73]
	v_fma_f64 v[128:129], v[183:184], s[12:13], v[80:81]
	v_fma_f64 v[80:81], v[183:184], s[10:11], v[80:81]
	v_fma_f64 v[173:174], v[235:236], s[12:13], v[34:35]
	v_fma_f64 v[177:178], v[235:236], s[10:11], v[34:35]
	v_fma_f64 v[185:186], v[237:238], s[10:11], v[116:117]
	v_fma_f64 v[116:117], v[237:238], s[12:13], v[116:117]
	v_add_f64 v[50:51], v[54:55], v[50:51]
	v_fma_f64 v[54:55], v[52:53], s[12:13], v[28:29]
	v_fma_f64 v[114:115], v[62:63], s[10:11], v[114:115]
	;; [unrolled: 1-line block ×5, first 2 shown]
	v_add_f64 v[98:99], v[130:131], v[134:135]
	v_fma_f64 v[130:131], v[18:19], s[12:13], v[82:83]
	v_fma_f64 v[134:135], v[179:180], s[10:11], v[84:85]
	;; [unrolled: 1-line block ×4, first 2 shown]
	v_add_f64 v[100:101], v[163:164], v[165:166]
	v_fma_f64 v[163:164], v[199:200], s[10:11], v[88:89]
	v_fma_f64 v[169:170], v[6:7], s[12:13], v[94:95]
	;; [unrolled: 1-line block ×8, first 2 shown]
	v_add_f64 v[118:119], v[219:220], v[221:222]
	v_add_f64 v[122:123], v[227:228], v[229:230]
	;; [unrolled: 1-line block ×5, first 2 shown]
	v_fma_f64 v[22:23], v[167:168], s[4:5], v[58:59]
	v_fma_f64 v[58:59], v[183:184], s[0:1], v[126:127]
	;; [unrolled: 1-line block ×5, first 2 shown]
	v_add_f64 v[120:121], v[223:224], v[225:226]
	v_add_f64 v[124:125], v[231:232], v[233:234]
	;; [unrolled: 1-line block ×4, first 2 shown]
	v_fma_f64 v[24:25], v[167:168], s[0:1], v[66:67]
	v_fma_f64 v[26:27], v[132:133], s[4:5], v[70:71]
	;; [unrolled: 1-line block ×11, first 2 shown]
	v_add_f64 v[30:31], v[20:21], v[16:17]
	v_fma_f64 v[16:17], v[187:188], s[0:1], v[46:47]
	v_fma_f64 v[20:21], v[187:188], s[4:5], v[56:57]
	v_fma_f64 v[56:57], v[132:133], s[0:1], v[72:73]
	v_fma_f64 v[14:15], v[175:176], s[4:5], v[36:37]
	v_fma_f64 v[130:131], v[179:180], s[4:5], v[130:131]
	v_fma_f64 v[132:133], v[18:19], s[4:5], v[134:135]
	v_fma_f64 v[82:83], v[179:180], s[0:1], v[82:83]
	v_fma_f64 v[18:19], v[18:19], s[0:1], v[84:85]
	v_add_f64 v[110:111], v[189:190], v[191:192]
	v_fma_f64 v[84:85], v[195:196], s[0:1], v[163:164]
	v_fma_f64 v[163:164], v[205:206], s[4:5], v[169:170]
	v_add_f64 v[112:113], v[193:194], v[197:198]
	v_fma_f64 v[134:135], v[199:200], s[0:1], v[165:166]
	v_fma_f64 v[165:166], v[6:7], s[4:5], v[171:172]
	;; [unrolled: 1-line block ×6, first 2 shown]
	v_add_f64 v[36:37], v[50:51], v[42:43]
	v_add_f64 v[38:39], v[40:41], v[38:39]
	v_fma_f64 v[60:61], v[118:119], s[6:7], v[60:61]
	v_fma_f64 v[62:63], v[122:123], s[6:7], v[74:75]
	;; [unrolled: 1-line block ×32, first 2 shown]
	ds_write_b128 v239, v[36:39]
	ds_write_b128 v239, v[60:63] offset:576
	ds_write_b128 v239, v[68:71] offset:1152
	ds_write_b128 v239, v[72:75] offset:1728
	ds_write_b128 v239, v[64:67] offset:2304
	ds_write_b128 v240, v[28:31]
	ds_write_b128 v240, v[40:43] offset:576
	ds_write_b128 v240, v[48:51] offset:1152
	ds_write_b128 v240, v[52:55] offset:1728
	ds_write_b128 v240, v[44:47] offset:2304
	;; [unrolled: 5-line block ×4, first 2 shown]
	s_waitcnt lgkmcnt(0)
	s_barrier
	buffer_gl0_inv
	ds_read_b128 v[28:31], v152
	ds_read_b128 v[60:63], v152 offset:2880
	ds_read_b128 v[56:59], v152 offset:5760
	;; [unrolled: 1-line block ×11, first 2 shown]
	ds_read_b128 v[32:35], v156
	ds_read_b128 v[72:75], v152 offset:18288
	v_cmp_gt_u32_e64 s0, 54, v136
	s_and_saveexec_b32 s1, s0
	s_cbranch_execz .LBB0_23
; %bb.22:
	ds_read_b128 v[4:7], v155
	ds_read_b128 v[8:11], v152 offset:4896
	ds_read_b128 v[12:15], v152 offset:7776
	;; [unrolled: 1-line block ×6, first 2 shown]
.LBB0_23:
	s_or_b32 exec_lo, exec_lo, s1
	v_mul_u32_u24_e32 v84, 6, v136
	v_mul_i32_i24_e32 v150, 6, v138
	s_mov_b32 s12, 0x37e14327
	s_mov_b32 s6, 0x36b3c0b5
	s_mov_b32 s16, 0xe976ee23
	v_lshlrev_b32_e32 v84, 4, v84
	v_lshlrev_b64 v[102:103], 4, v[150:151]
	s_mov_b32 s4, 0x429ad128
	s_mov_b32 s13, 0x3fe948f6
	;; [unrolled: 1-line block ×3, first 2 shown]
	v_add_co_u32 v104, s1, s8, v84
	v_add_co_ci_u32_e64 v105, null, s9, 0, s1
	s_mov_b32 s17, 0x3fe11646
	v_add_co_u32 v100, s1, 0x800, v104
	v_add_co_ci_u32_e64 v101, s1, 0, v105, s1
	v_add_co_u32 v96, s1, 0xb20, v104
	v_add_co_ci_u32_e64 v97, s1, 0, v105, s1
	;; [unrolled: 2-line block ×4, first 2 shown]
	s_clause 0x3
	global_load_dwordx4 v[84:87], v[100:101], off offset:800
	global_load_dwordx4 v[88:91], v[96:97], off offset:48
	;; [unrolled: 1-line block ×4, first 2 shown]
	v_add_co_u32 v128, s1, 0x800, v112
	v_add_co_ci_u32_e64 v129, s1, 0, v113, s1
	v_add_co_u32 v124, s1, 0xb20, v112
	s_clause 0x1
	global_load_dwordx4 v[100:103], v[100:101], off offset:864
	global_load_dwordx4 v[104:107], v[104:105], off offset:16
	v_add_co_ci_u32_e64 v125, s1, 0, v113, s1
	v_add_co_u32 v120, s1, 0xb60, v112
	v_add_co_ci_u32_e64 v121, s1, 0, v113, s1
	s_clause 0x5
	global_load_dwordx4 v[108:111], v[128:129], off offset:800
	global_load_dwordx4 v[112:115], v[124:125], off offset:16
	;; [unrolled: 1-line block ×6, first 2 shown]
	s_mov_b32 s5, 0xbfebfeb5
	s_mov_b32 s10, 0xaaaaaaaa
	;; [unrolled: 1-line block ×13, first 2 shown]
	s_waitcnt vmcnt(0) lgkmcnt(0)
	s_barrier
	buffer_gl0_inv
	v_mul_f64 v[132:133], v[62:63], v[86:87]
	v_mul_f64 v[86:87], v[60:61], v[86:87]
	;; [unrolled: 1-line block ×24, first 2 shown]
	v_fma_f64 v[60:61], v[60:61], v[84:85], v[132:133]
	v_fma_f64 v[62:63], v[62:63], v[84:85], -v[86:87]
	v_fma_f64 v[56:57], v[56:57], v[96:97], v[134:135]
	v_fma_f64 v[58:59], v[58:59], v[96:97], -v[98:99]
	v_fma_f64 v[64:65], v[64:65], v[92:93], v[150:151]
	v_fma_f64 v[76:77], v[76:77], v[100:101], v[165:166]
	;; [unrolled: 1-line block ×3, first 2 shown]
	v_fma_f64 v[82:83], v[82:83], v[104:105], -v[106:107]
	v_fma_f64 v[78:79], v[78:79], v[100:101], -v[102:103]
	v_fma_f64 v[66:67], v[66:67], v[92:93], -v[94:95]
	v_fma_f64 v[68:69], v[68:69], v[88:89], v[167:168]
	v_fma_f64 v[70:71], v[70:71], v[88:89], -v[90:91]
	v_fma_f64 v[72:73], v[72:73], v[120:121], v[175:176]
	v_fma_f64 v[48:49], v[48:49], v[108:109], v[169:170]
	v_fma_f64 v[50:51], v[50:51], v[108:109], -v[110:111]
	v_fma_f64 v[74:75], v[74:75], v[120:121], -v[122:123]
	v_fma_f64 v[44:45], v[44:45], v[112:113], v[171:172]
	v_fma_f64 v[46:47], v[46:47], v[112:113], -v[114:115]
	v_fma_f64 v[52:53], v[52:53], v[128:129], v[179:180]
	;; [unrolled: 2-line block ×4, first 2 shown]
	v_fma_f64 v[42:43], v[42:43], v[124:125], -v[126:127]
	v_add_f64 v[88:89], v[56:57], v[76:77]
	v_add_f64 v[84:85], v[60:61], v[80:81]
	;; [unrolled: 1-line block ×4, first 2 shown]
	v_add_f64 v[60:61], v[60:61], -v[80:81]
	v_add_f64 v[62:63], v[62:63], -v[82:83]
	v_add_f64 v[80:81], v[64:65], v[68:69]
	v_add_f64 v[82:83], v[66:67], v[70:71]
	v_add_f64 v[64:65], v[68:69], -v[64:65]
	v_add_f64 v[66:67], v[70:71], -v[66:67]
	v_add_f64 v[68:69], v[48:49], v[72:73]
	v_add_f64 v[70:71], v[50:51], v[74:75]
	;; [unrolled: 4-line block ×3, first 2 shown]
	v_add_f64 v[56:57], v[56:57], -v[76:77]
	v_add_f64 v[58:59], v[58:59], -v[78:79]
	;; [unrolled: 1-line block ×4, first 2 shown]
	v_add_f64 v[52:53], v[36:37], v[40:41]
	v_add_f64 v[54:55], v[38:39], v[42:43]
	v_add_f64 v[36:37], v[40:41], -v[36:37]
	v_add_f64 v[38:39], v[42:43], -v[38:39]
	v_add_f64 v[40:41], v[88:89], v[84:85]
	v_add_f64 v[42:43], v[90:91], v[86:87]
	v_add_f64 v[76:77], v[88:89], -v[84:85]
	v_add_f64 v[78:79], v[90:91], -v[86:87]
	;; [unrolled: 1-line block ×6, first 2 shown]
	v_add_f64 v[100:101], v[72:73], v[68:69]
	v_add_f64 v[102:103], v[74:75], v[70:71]
	;; [unrolled: 1-line block ×4, first 2 shown]
	v_add_f64 v[96:97], v[64:65], -v[56:57]
	v_add_f64 v[98:99], v[66:67], -v[58:59]
	;; [unrolled: 1-line block ×6, first 2 shown]
	v_add_f64 v[40:41], v[80:81], v[40:41]
	v_add_f64 v[42:43], v[82:83], v[42:43]
	v_add_f64 v[68:69], v[68:69], -v[52:53]
	v_add_f64 v[70:71], v[70:71], -v[54:55]
	;; [unrolled: 1-line block ×4, first 2 shown]
	v_add_f64 v[108:109], v[36:37], v[44:45]
	v_add_f64 v[110:111], v[38:39], v[46:47]
	v_add_f64 v[112:113], v[36:37], -v[44:45]
	v_add_f64 v[114:115], v[38:39], -v[46:47]
	;; [unrolled: 1-line block ×4, first 2 shown]
	v_add_f64 v[52:53], v[52:53], v[100:101]
	v_add_f64 v[54:55], v[54:55], v[102:103]
	v_add_f64 v[64:65], v[60:61], -v[64:65]
	v_add_f64 v[66:67], v[62:63], -v[66:67]
	v_add_f64 v[60:61], v[92:93], v[60:61]
	v_add_f64 v[62:63], v[94:95], v[62:63]
	v_mul_f64 v[80:81], v[84:85], s[12:13]
	v_mul_f64 v[82:83], v[86:87], s[12:13]
	;; [unrolled: 1-line block ×8, first 2 shown]
	v_add_f64 v[28:29], v[28:29], v[40:41]
	v_add_f64 v[30:31], v[30:31], v[42:43]
	v_add_f64 v[36:37], v[48:49], -v[36:37]
	v_add_f64 v[38:39], v[50:51], -v[38:39]
	v_add_f64 v[48:49], v[108:109], v[48:49]
	v_add_f64 v[50:51], v[110:111], v[50:51]
	v_mul_f64 v[68:69], v[68:69], s[12:13]
	v_mul_f64 v[70:71], v[70:71], s[12:13]
	;; [unrolled: 1-line block ×4, first 2 shown]
	v_add_f64 v[32:33], v[32:33], v[52:53]
	v_add_f64 v[34:35], v[34:35], v[54:55]
	v_mul_f64 v[112:113], v[44:45], s[4:5]
	v_mul_f64 v[114:115], v[46:47], s[4:5]
	;; [unrolled: 1-line block ×4, first 2 shown]
	v_fma_f64 v[88:89], v[88:89], s[6:7], v[80:81]
	v_fma_f64 v[90:91], v[90:91], s[6:7], v[82:83]
	v_fma_f64 v[84:85], v[76:77], s[14:15], -v[84:85]
	v_fma_f64 v[86:87], v[78:79], s[14:15], -v[86:87]
	;; [unrolled: 1-line block ×4, first 2 shown]
	v_fma_f64 v[80:81], v[64:65], s[20:21], v[92:93]
	v_fma_f64 v[82:83], v[66:67], s[20:21], v[94:95]
	v_fma_f64 v[56:57], v[56:57], s[4:5], -v[92:93]
	v_fma_f64 v[58:59], v[58:59], s[4:5], -v[94:95]
	;; [unrolled: 1-line block ×4, first 2 shown]
	v_fma_f64 v[40:41], v[40:41], s[10:11], v[28:29]
	v_fma_f64 v[42:43], v[42:43], s[10:11], v[30:31]
	;; [unrolled: 1-line block ×8, first 2 shown]
	v_fma_f64 v[36:37], v[36:37], s[24:25], -v[112:113]
	v_fma_f64 v[38:39], v[38:39], s[24:25], -v[114:115]
	;; [unrolled: 1-line block ×8, first 2 shown]
	v_fma_f64 v[80:81], v[60:61], s[22:23], v[80:81]
	v_fma_f64 v[82:83], v[62:63], s[22:23], v[82:83]
	;; [unrolled: 1-line block ×6, first 2 shown]
	v_add_f64 v[64:65], v[88:89], v[40:41]
	v_add_f64 v[66:67], v[90:91], v[42:43]
	;; [unrolled: 1-line block ×6, first 2 shown]
	v_fma_f64 v[88:89], v[48:49], s[22:23], v[96:97]
	v_fma_f64 v[90:91], v[50:51], s[22:23], v[98:99]
	v_add_f64 v[104:105], v[72:73], v[52:53]
	v_add_f64 v[106:107], v[74:75], v[54:55]
	v_fma_f64 v[100:101], v[48:49], s[22:23], v[36:37]
	v_fma_f64 v[102:103], v[50:51], s[22:23], v[38:39]
	v_add_f64 v[108:109], v[68:69], v[52:53]
	v_add_f64 v[110:111], v[70:71], v[54:55]
	;; [unrolled: 4-line block ×3, first 2 shown]
	v_add_f64 v[36:37], v[82:83], v[64:65]
	v_add_f64 v[38:39], v[66:67], -v[80:81]
	v_add_f64 v[40:41], v[62:63], v[76:77]
	v_add_f64 v[42:43], v[78:79], -v[60:61]
	v_add_f64 v[44:45], v[84:85], -v[58:59]
	v_add_f64 v[46:47], v[56:57], v[86:87]
	v_add_f64 v[48:49], v[58:59], v[84:85]
	v_add_f64 v[50:51], v[86:87], -v[56:57]
	v_add_f64 v[52:53], v[76:77], -v[62:63]
	v_add_f64 v[54:55], v[60:61], v[78:79]
	v_add_f64 v[56:57], v[64:65], -v[82:83]
	v_add_f64 v[58:59], v[80:81], v[66:67]
	v_add_f64 v[60:61], v[90:91], v[104:105]
	v_add_f64 v[62:63], v[106:107], -v[88:89]
	v_add_f64 v[64:65], v[102:103], v[108:109]
	v_add_f64 v[66:67], v[110:111], -v[100:101]
	v_add_f64 v[68:69], v[72:73], -v[98:99]
	v_add_f64 v[70:71], v[96:97], v[74:75]
	v_add_f64 v[72:73], v[98:99], v[72:73]
	v_add_f64 v[74:75], v[74:75], -v[96:97]
	v_add_f64 v[76:77], v[108:109], -v[102:103]
	v_add_f64 v[78:79], v[100:101], v[110:111]
	v_add_f64 v[80:81], v[104:105], -v[90:91]
	v_add_f64 v[82:83], v[88:89], v[106:107]
	ds_write_b128 v152, v[28:31]
	ds_write_b128 v152, v[36:39] offset:2880
	ds_write_b128 v152, v[40:43] offset:5760
	ds_write_b128 v152, v[44:47] offset:8640
	ds_write_b128 v152, v[48:51] offset:11520
	ds_write_b128 v152, v[52:55] offset:14400
	ds_write_b128 v152, v[56:59] offset:17280
	ds_write_b128 v156, v[32:35]
	ds_write_b128 v156, v[60:63] offset:2880
	ds_write_b128 v156, v[64:67] offset:5760
	;; [unrolled: 1-line block ×6, first 2 shown]
	s_and_saveexec_b32 s1, s0
	s_cbranch_execz .LBB0_25
; %bb.24:
	v_subrev_nc_u32_e32 v28, 54, v136
	v_mov_b32_e32 v29, 0
	v_cndmask_b32_e64 v28, v28, v149, s0
	v_mul_i32_i24_e32 v28, 6, v28
	v_lshlrev_b64 v[28:29], 4, v[28:29]
	v_add_co_u32 v28, s0, s8, v28
	v_add_co_ci_u32_e64 v29, s0, s9, v29, s0
	v_add_co_u32 v48, s0, 0xb20, v28
	v_add_co_ci_u32_e64 v49, s0, 0, v29, s0
	v_add_co_u32 v36, s0, 0x800, v28
	v_add_co_ci_u32_e64 v37, s0, 0, v29, s0
	v_add_co_u32 v40, s0, 0xb60, v28
	v_add_co_ci_u32_e64 v41, s0, 0, v29, s0
	s_clause 0x5
	global_load_dwordx4 v[28:31], v[48:49], off offset:16
	global_load_dwordx4 v[32:35], v[36:37], off offset:864
	;; [unrolled: 1-line block ×6, first 2 shown]
	s_waitcnt vmcnt(5)
	v_mul_f64 v[52:53], v[12:13], v[30:31]
	s_waitcnt vmcnt(4)
	v_mul_f64 v[54:55], v[24:25], v[34:35]
	s_waitcnt vmcnt(3)
	v_mul_f64 v[56:57], v[8:9], v[38:39]
	s_waitcnt vmcnt(2)
	v_mul_f64 v[58:59], v[0:1], v[42:43]
	v_mul_f64 v[30:31], v[14:15], v[30:31]
	v_mul_f64 v[34:35], v[26:27], v[34:35]
	;; [unrolled: 1-line block ×4, first 2 shown]
	s_waitcnt vmcnt(1)
	v_mul_f64 v[60:61], v[22:23], v[46:47]
	s_waitcnt vmcnt(0)
	v_mul_f64 v[62:63], v[18:19], v[50:51]
	v_mul_f64 v[50:51], v[16:17], v[50:51]
	v_mul_f64 v[46:47], v[20:21], v[46:47]
	v_fma_f64 v[14:15], v[14:15], v[28:29], -v[52:53]
	v_fma_f64 v[26:27], v[26:27], v[32:33], -v[54:55]
	;; [unrolled: 1-line block ×4, first 2 shown]
	v_fma_f64 v[12:13], v[12:13], v[28:29], v[30:31]
	v_fma_f64 v[24:25], v[24:25], v[32:33], v[34:35]
	;; [unrolled: 1-line block ×6, first 2 shown]
	v_fma_f64 v[18:19], v[18:19], v[48:49], -v[50:51]
	v_fma_f64 v[22:23], v[22:23], v[44:45], -v[46:47]
	v_add_f64 v[28:29], v[14:15], v[26:27]
	v_add_f64 v[14:15], v[14:15], -v[26:27]
	v_add_f64 v[30:31], v[10:11], v[2:3]
	v_add_f64 v[10:11], v[10:11], -v[2:3]
	;; [unrolled: 2-line block ×4, first 2 shown]
	v_add_f64 v[36:37], v[20:21], -v[16:17]
	v_add_f64 v[16:17], v[16:17], v[20:21]
	v_add_f64 v[24:25], v[18:19], v[22:23]
	v_add_f64 v[18:19], v[22:23], -v[18:19]
	v_add_f64 v[0:1], v[28:29], v[30:31]
	v_add_f64 v[42:43], v[14:15], -v[10:11]
	;; [unrolled: 2-line block ×3, first 2 shown]
	v_add_f64 v[20:21], v[36:37], -v[12:13]
	v_add_f64 v[26:27], v[34:35], -v[16:17]
	;; [unrolled: 1-line block ×3, first 2 shown]
	v_add_f64 v[12:13], v[36:37], v[12:13]
	v_add_f64 v[36:37], v[8:9], -v[36:37]
	v_add_f64 v[40:41], v[24:25], v[0:1]
	v_add_f64 v[24:25], v[24:25], -v[28:29]
	v_add_f64 v[0:1], v[18:19], -v[14:15]
	v_add_f64 v[14:15], v[18:19], v[14:15]
	v_add_f64 v[44:45], v[16:17], v[2:3]
	v_add_f64 v[16:17], v[16:17], -v[32:33]
	v_mul_f64 v[20:21], v[20:21], s[16:17]
	v_mul_f64 v[26:27], v[26:27], s[12:13]
	;; [unrolled: 1-line block ×4, first 2 shown]
	v_add_f64 v[18:19], v[10:11], -v[18:19]
	v_mul_f64 v[48:49], v[42:43], s[4:5]
	v_add_f64 v[8:9], v[12:13], v[8:9]
	v_add_f64 v[2:3], v[6:7], v[40:41]
	v_add_f64 v[6:7], v[28:29], -v[30:31]
	v_mul_f64 v[28:29], v[24:25], s[6:7]
	v_mul_f64 v[30:31], v[0:1], s[16:17]
	v_add_f64 v[0:1], v[4:5], v[44:45]
	v_add_f64 v[4:5], v[32:33], -v[34:35]
	v_mul_f64 v[32:33], v[16:17], s[6:7]
	v_add_f64 v[10:11], v[14:15], v[10:11]
	v_fma_f64 v[12:13], v[36:37], s[20:21], v[20:21]
	v_fma_f64 v[14:15], v[24:25], s[6:7], v[22:23]
	;; [unrolled: 1-line block ×3, first 2 shown]
	v_fma_f64 v[24:25], v[36:37], s[24:25], -v[46:47]
	v_fma_f64 v[20:21], v[38:39], s[4:5], -v[20:21]
	v_fma_f64 v[34:35], v[40:41], s[10:11], v[2:3]
	v_fma_f64 v[22:23], v[6:7], s[18:19], -v[22:23]
	v_fma_f64 v[6:7], v[6:7], s[14:15], -v[28:29]
	v_fma_f64 v[28:29], v[18:19], s[20:21], v[30:31]
	v_fma_f64 v[36:37], v[44:45], s[10:11], v[0:1]
	v_fma_f64 v[18:19], v[18:19], s[24:25], -v[48:49]
	v_fma_f64 v[26:27], v[4:5], s[18:19], -v[26:27]
	;; [unrolled: 1-line block ×4, first 2 shown]
	v_fma_f64 v[12:13], v[8:9], s[22:23], v[12:13]
	v_fma_f64 v[24:25], v[8:9], s[22:23], v[24:25]
	v_fma_f64 v[8:9], v[8:9], s[22:23], v[20:21]
	v_add_f64 v[20:21], v[14:15], v[34:35]
	v_add_f64 v[22:23], v[22:23], v[34:35]
	;; [unrolled: 1-line block ×3, first 2 shown]
	v_fma_f64 v[28:29], v[10:11], s[22:23], v[28:29]
	v_add_f64 v[38:39], v[16:17], v[36:37]
	v_fma_f64 v[34:35], v[10:11], s[22:23], v[18:19]
	v_add_f64 v[40:41], v[26:27], v[36:37]
	;; [unrolled: 2-line block ×3, first 2 shown]
	v_add_f64 v[26:27], v[20:21], -v[12:13]
	v_add_f64 v[10:11], v[24:25], v[22:23]
	v_add_f64 v[22:23], v[22:23], -v[24:25]
	v_add_f64 v[6:7], v[12:13], v[20:21]
	v_add_f64 v[24:25], v[28:29], v[38:39]
	;; [unrolled: 1-line block ×4, first 2 shown]
	v_add_f64 v[14:15], v[32:33], -v[8:9]
	v_add_f64 v[16:17], v[4:5], -v[30:31]
	v_add_f64 v[12:13], v[30:31], v[4:5]
	v_add_f64 v[8:9], v[40:41], -v[34:35]
	v_add_f64 v[4:5], v[38:39], -v[28:29]
	ds_write_b128 v152, v[0:3] offset:2016
	ds_write_b128 v152, v[24:27] offset:4896
	;; [unrolled: 1-line block ×7, first 2 shown]
.LBB0_25:
	s_or_b32 exec_lo, exec_lo, s1
	s_waitcnt lgkmcnt(0)
	s_barrier
	buffer_gl0_inv
	ds_read_b128 v[4:7], v152
	v_sub_nc_u32_e32 v12, 0, v137
	s_add_u32 s1, s8, 0x4ea0
	s_addc_u32 s4, s9, 0
	s_mov_b32 s5, exec_lo
                                        ; implicit-def: $vgpr0_vgpr1
                                        ; implicit-def: $vgpr8_vgpr9
                                        ; implicit-def: $vgpr10_vgpr11
	v_cmpx_ne_u32_e32 0, v136
	s_xor_b32 s5, exec_lo, s5
	s_cbranch_execz .LBB0_27
; %bb.26:
	v_mov_b32_e32 v137, 0
	v_lshlrev_b64 v[0:1], 4, v[136:137]
	v_add_co_u32 v0, s0, s1, v0
	v_add_co_ci_u32_e64 v1, s0, s4, v1, s0
	global_load_dwordx4 v[13:16], v[0:1], off
	ds_read_b128 v[0:3], v12 offset:20160
	s_waitcnt lgkmcnt(0)
	v_add_f64 v[8:9], v[4:5], -v[0:1]
	v_add_f64 v[10:11], v[6:7], v[2:3]
	v_add_f64 v[2:3], v[6:7], -v[2:3]
	v_add_f64 v[0:1], v[4:5], v[0:1]
	v_mul_f64 v[6:7], v[8:9], 0.5
	v_mul_f64 v[4:5], v[10:11], 0.5
	;; [unrolled: 1-line block ×3, first 2 shown]
	s_waitcnt vmcnt(0)
	v_mul_f64 v[8:9], v[6:7], v[15:16]
	v_fma_f64 v[10:11], v[4:5], v[15:16], v[2:3]
	v_fma_f64 v[2:3], v[4:5], v[15:16], -v[2:3]
	v_fma_f64 v[17:18], v[0:1], 0.5, v[8:9]
	v_fma_f64 v[0:1], v[0:1], 0.5, -v[8:9]
	v_fma_f64 v[10:11], -v[13:14], v[6:7], v[10:11]
	v_fma_f64 v[2:3], -v[13:14], v[6:7], v[2:3]
	v_fma_f64 v[8:9], v[4:5], v[13:14], v[17:18]
	v_fma_f64 v[0:1], -v[4:5], v[13:14], v[0:1]
                                        ; implicit-def: $vgpr4_vgpr5
.LBB0_27:
	s_or_saveexec_b32 s0, s5
	v_sub_nc_u32_e32 v14, 0, v139
	v_sub_nc_u32_e32 v13, 0, v158
	s_xor_b32 exec_lo, exec_lo, s0
	s_cbranch_execz .LBB0_29
; %bb.28:
	v_mov_b32_e32 v17, 0
	s_waitcnt lgkmcnt(0)
	v_add_f64 v[8:9], v[4:5], v[6:7]
	v_add_f64 v[0:1], v[4:5], -v[6:7]
	v_mov_b32_e32 v10, 0
	v_mov_b32_e32 v11, 0
	ds_read_b64 v[15:16], v17 offset:10088
	v_mov_b32_e32 v2, v10
	v_mov_b32_e32 v3, v11
	s_waitcnt lgkmcnt(0)
	v_xor_b32_e32 v16, 0x80000000, v16
	ds_write_b64 v17, v[15:16] offset:10088
.LBB0_29:
	s_or_b32 exec_lo, exec_lo, s0
	v_mov_b32_e32 v139, 0
	ds_write2_b64 v152, v[8:9], v[10:11] offset1:1
	ds_write_b128 v12, v[0:3] offset:20160
	v_add_nc_u32_e32 v14, v154, v14
	s_waitcnt lgkmcnt(2)
	v_lshlrev_b64 v[4:5], 4, v[138:139]
	v_mov_b32_e32 v150, v139
	v_lshlrev_b64 v[15:16], 4, v[149:150]
	v_add_co_u32 v4, s0, s1, v4
	v_add_co_ci_u32_e64 v5, s0, s4, v5, s0
	v_mov_b32_e32 v149, v139
	v_add_co_u32 v15, s0, s1, v15
	global_load_dwordx4 v[4:7], v[4:5], off
	v_add_co_ci_u32_e64 v16, s0, s4, v16, s0
	v_lshlrev_b64 v[19:20], 4, v[148:149]
	v_mov_b32_e32 v148, v139
	global_load_dwordx4 v[15:18], v[15:16], off
	ds_read_b128 v[0:3], v156
	ds_read_b128 v[8:11], v12 offset:19152
	v_add_co_u32 v19, s0, s1, v19
	v_add_co_ci_u32_e64 v20, s0, s4, v20, s0
	global_load_dwordx4 v[19:22], v[19:20], off
	s_waitcnt lgkmcnt(0)
	v_add_f64 v[23:24], v[0:1], -v[8:9]
	v_add_f64 v[25:26], v[2:3], v[10:11]
	v_add_f64 v[2:3], v[2:3], -v[10:11]
	v_add_f64 v[0:1], v[0:1], v[8:9]
	v_mul_f64 v[10:11], v[23:24], 0.5
	v_mul_f64 v[23:24], v[25:26], 0.5
	;; [unrolled: 1-line block ×3, first 2 shown]
	s_waitcnt vmcnt(2)
	v_mul_f64 v[8:9], v[10:11], v[6:7]
	v_fma_f64 v[25:26], v[23:24], v[6:7], v[2:3]
	v_fma_f64 v[2:3], v[23:24], v[6:7], -v[2:3]
	v_fma_f64 v[6:7], v[0:1], 0.5, v[8:9]
	v_fma_f64 v[0:1], v[0:1], 0.5, -v[8:9]
	v_fma_f64 v[8:9], -v[4:5], v[10:11], v[25:26]
	v_fma_f64 v[2:3], -v[4:5], v[10:11], v[2:3]
	v_lshlrev_b64 v[10:11], 4, v[147:148]
	v_mov_b32_e32 v147, v139
	v_fma_f64 v[6:7], v[23:24], v[4:5], v[6:7]
	v_fma_f64 v[0:1], -v[23:24], v[4:5], v[0:1]
	ds_write2_b64 v156, v[6:7], v[8:9] offset1:1
	ds_write_b128 v12, v[0:3] offset:19152
	v_add_co_u32 v8, s0, s1, v10
	v_add_co_ci_u32_e64 v9, s0, s4, v11, s0
	ds_read_b128 v[0:3], v155
	ds_read_b128 v[4:7], v12 offset:18144
	global_load_dwordx4 v[8:11], v[8:9], off
	s_waitcnt lgkmcnt(0)
	v_add_f64 v[23:24], v[0:1], -v[4:5]
	v_add_f64 v[25:26], v[2:3], v[6:7]
	v_add_f64 v[2:3], v[2:3], -v[6:7]
	v_add_f64 v[0:1], v[0:1], v[4:5]
	v_mul_f64 v[6:7], v[23:24], 0.5
	v_mul_f64 v[23:24], v[25:26], 0.5
	;; [unrolled: 1-line block ×3, first 2 shown]
	s_waitcnt vmcnt(2)
	v_mul_f64 v[4:5], v[6:7], v[17:18]
	v_fma_f64 v[25:26], v[23:24], v[17:18], v[2:3]
	v_fma_f64 v[2:3], v[23:24], v[17:18], -v[2:3]
	v_fma_f64 v[17:18], v[0:1], 0.5, v[4:5]
	v_fma_f64 v[0:1], v[0:1], 0.5, -v[4:5]
	v_fma_f64 v[4:5], -v[15:16], v[6:7], v[25:26]
	v_fma_f64 v[2:3], -v[15:16], v[6:7], v[2:3]
	v_fma_f64 v[6:7], v[23:24], v[15:16], v[17:18]
	v_fma_f64 v[0:1], -v[23:24], v[15:16], v[0:1]
	v_lshlrev_b64 v[15:16], 4, v[146:147]
	v_mov_b32_e32 v146, v139
	ds_write2_b64 v155, v[6:7], v[4:5] offset1:1
	ds_write_b128 v12, v[0:3] offset:18144
	v_add_co_u32 v15, s0, s1, v15
	v_add_co_ci_u32_e64 v16, s0, s4, v16, s0
	ds_read_b128 v[0:3], v161
	ds_read_b128 v[4:7], v12 offset:17136
	global_load_dwordx4 v[15:18], v[15:16], off
	s_waitcnt lgkmcnt(0)
	v_add_f64 v[23:24], v[0:1], -v[4:5]
	v_add_f64 v[25:26], v[2:3], v[6:7]
	v_add_f64 v[2:3], v[2:3], -v[6:7]
	v_add_f64 v[0:1], v[0:1], v[4:5]
	v_mul_f64 v[6:7], v[23:24], 0.5
	v_mul_f64 v[23:24], v[25:26], 0.5
	v_mul_f64 v[2:3], v[2:3], 0.5
	s_waitcnt vmcnt(2)
	v_mul_f64 v[4:5], v[6:7], v[21:22]
	v_fma_f64 v[25:26], v[23:24], v[21:22], v[2:3]
	v_fma_f64 v[2:3], v[23:24], v[21:22], -v[2:3]
	v_fma_f64 v[21:22], v[0:1], 0.5, v[4:5]
	v_fma_f64 v[0:1], v[0:1], 0.5, -v[4:5]
	v_fma_f64 v[4:5], -v[19:20], v[6:7], v[25:26]
	v_fma_f64 v[2:3], -v[19:20], v[6:7], v[2:3]
	v_fma_f64 v[6:7], v[23:24], v[19:20], v[21:22]
	v_fma_f64 v[0:1], -v[23:24], v[19:20], v[0:1]
	v_lshlrev_b64 v[19:20], 4, v[145:146]
	v_mov_b32_e32 v145, v139
	ds_write_b64 v161, v[4:5] offset:8
	ds_write_b64 v12, v[2:3] offset:17144
	ds_write_b64 v161, v[6:7]
	ds_write_b64 v12, v[0:1] offset:17136
	v_add_co_u32 v19, s0, s1, v19
	v_add_co_ci_u32_e64 v20, s0, s4, v20, s0
	ds_read_b128 v[0:3], v160
	ds_read_b128 v[4:7], v12 offset:16128
	global_load_dwordx4 v[19:22], v[19:20], off
	s_waitcnt lgkmcnt(0)
	v_add_f64 v[23:24], v[0:1], -v[4:5]
	v_add_f64 v[25:26], v[2:3], v[6:7]
	v_add_f64 v[2:3], v[2:3], -v[6:7]
	v_add_f64 v[0:1], v[0:1], v[4:5]
	v_mul_f64 v[6:7], v[23:24], 0.5
	v_mul_f64 v[23:24], v[25:26], 0.5
	v_mul_f64 v[2:3], v[2:3], 0.5
	s_waitcnt vmcnt(2)
	v_mul_f64 v[4:5], v[6:7], v[10:11]
	v_fma_f64 v[25:26], v[23:24], v[10:11], v[2:3]
	v_fma_f64 v[2:3], v[23:24], v[10:11], -v[2:3]
	v_fma_f64 v[10:11], v[0:1], 0.5, v[4:5]
	v_fma_f64 v[0:1], v[0:1], 0.5, -v[4:5]
	v_fma_f64 v[4:5], -v[8:9], v[6:7], v[25:26]
	v_fma_f64 v[2:3], -v[8:9], v[6:7], v[2:3]
	v_fma_f64 v[6:7], v[23:24], v[8:9], v[10:11]
	v_fma_f64 v[0:1], -v[23:24], v[8:9], v[0:1]
	v_lshlrev_b64 v[8:9], 4, v[144:145]
	v_mov_b32_e32 v144, v139
	ds_write_b64 v160, v[4:5] offset:8
	ds_write_b64 v12, v[2:3] offset:16136
	ds_write_b64 v160, v[6:7]
	ds_write_b64 v12, v[0:1] offset:16128
	;; [unrolled: 29-line block ×3, first 2 shown]
	v_add_co_u32 v15, s0, s1, v15
	v_add_co_ci_u32_e64 v16, s0, s4, v16, s0
	ds_read_b128 v[0:3], v157
	ds_read_b128 v[4:7], v12 offset:14112
	global_load_dwordx4 v[15:18], v[15:16], off
	s_waitcnt lgkmcnt(0)
	v_add_f64 v[23:24], v[0:1], -v[4:5]
	v_add_f64 v[25:26], v[2:3], v[6:7]
	v_add_f64 v[2:3], v[2:3], -v[6:7]
	v_add_f64 v[0:1], v[0:1], v[4:5]
	v_mul_f64 v[6:7], v[23:24], 0.5
	v_mul_f64 v[23:24], v[25:26], 0.5
	;; [unrolled: 1-line block ×3, first 2 shown]
	s_waitcnt vmcnt(2)
	v_mul_f64 v[4:5], v[6:7], v[21:22]
	v_fma_f64 v[25:26], v[23:24], v[21:22], v[2:3]
	v_fma_f64 v[2:3], v[23:24], v[21:22], -v[2:3]
	v_fma_f64 v[21:22], v[0:1], 0.5, v[4:5]
	v_fma_f64 v[0:1], v[0:1], 0.5, -v[4:5]
	v_fma_f64 v[4:5], -v[19:20], v[6:7], v[25:26]
	v_fma_f64 v[2:3], -v[19:20], v[6:7], v[2:3]
	v_fma_f64 v[6:7], v[23:24], v[19:20], v[21:22]
	v_fma_f64 v[0:1], -v[23:24], v[19:20], v[0:1]
	v_lshlrev_b64 v[19:20], 4, v[142:143]
	ds_write_b64 v157, v[4:5] offset:8
	ds_write_b64 v12, v[2:3] offset:14120
	ds_write_b64 v157, v[6:7]
	ds_write_b64 v12, v[0:1] offset:14112
	v_add_co_u32 v19, s0, s1, v19
	v_add_co_ci_u32_e64 v20, s0, s4, v20, s0
	ds_read_b128 v[0:3], v14
	ds_read_b128 v[4:7], v12 offset:13104
	global_load_dwordx4 v[19:22], v[19:20], off
	s_waitcnt lgkmcnt(0)
	v_add_f64 v[23:24], v[0:1], -v[4:5]
	v_add_f64 v[25:26], v[2:3], v[6:7]
	v_add_f64 v[2:3], v[2:3], -v[6:7]
	v_add_f64 v[0:1], v[0:1], v[4:5]
	v_mul_f64 v[6:7], v[23:24], 0.5
	v_mul_f64 v[23:24], v[25:26], 0.5
	;; [unrolled: 1-line block ×3, first 2 shown]
	s_waitcnt vmcnt(2)
	v_mul_f64 v[4:5], v[6:7], v[10:11]
	v_fma_f64 v[25:26], v[23:24], v[10:11], v[2:3]
	v_fma_f64 v[2:3], v[23:24], v[10:11], -v[2:3]
	v_fma_f64 v[10:11], v[0:1], 0.5, v[4:5]
	v_fma_f64 v[0:1], v[0:1], 0.5, -v[4:5]
	v_fma_f64 v[4:5], -v[8:9], v[6:7], v[25:26]
	v_fma_f64 v[2:3], -v[8:9], v[6:7], v[2:3]
	v_fma_f64 v[6:7], v[23:24], v[8:9], v[10:11]
	v_fma_f64 v[0:1], -v[23:24], v[8:9], v[0:1]
	ds_write_b64 v14, v[4:5] offset:8
	ds_write_b64 v12, v[2:3] offset:13112
	ds_write_b64 v14, v[6:7]
	ds_write_b64 v12, v[0:1] offset:13104
	ds_read_b128 v[0:3], v162
	ds_read_b128 v[4:7], v12 offset:12096
	s_waitcnt lgkmcnt(0)
	v_add_f64 v[8:9], v[0:1], -v[4:5]
	v_add_f64 v[10:11], v[2:3], v[6:7]
	v_add_f64 v[2:3], v[2:3], -v[6:7]
	v_add_f64 v[0:1], v[0:1], v[4:5]
	v_mul_f64 v[6:7], v[8:9], 0.5
	v_mul_f64 v[8:9], v[10:11], 0.5
	;; [unrolled: 1-line block ×3, first 2 shown]
	s_waitcnt vmcnt(1)
	v_mul_f64 v[4:5], v[6:7], v[17:18]
	v_fma_f64 v[10:11], v[8:9], v[17:18], v[2:3]
	v_fma_f64 v[2:3], v[8:9], v[17:18], -v[2:3]
	v_fma_f64 v[17:18], v[0:1], 0.5, v[4:5]
	v_fma_f64 v[0:1], v[0:1], 0.5, -v[4:5]
	v_fma_f64 v[4:5], -v[15:16], v[6:7], v[10:11]
	v_fma_f64 v[2:3], -v[15:16], v[6:7], v[2:3]
	v_fma_f64 v[6:7], v[8:9], v[15:16], v[17:18]
	v_fma_f64 v[0:1], -v[8:9], v[15:16], v[0:1]
	v_add_nc_u32_e32 v15, v153, v13
	ds_write_b64 v162, v[4:5] offset:8
	ds_write_b64 v12, v[2:3] offset:12104
	ds_write_b64 v162, v[6:7]
	ds_write_b64 v12, v[0:1] offset:12096
	ds_read_b128 v[0:3], v15
	ds_read_b128 v[4:7], v12 offset:11088
	s_waitcnt lgkmcnt(0)
	v_add_f64 v[8:9], v[0:1], -v[4:5]
	v_add_f64 v[10:11], v[2:3], v[6:7]
	v_add_f64 v[2:3], v[2:3], -v[6:7]
	v_add_f64 v[0:1], v[0:1], v[4:5]
	v_mul_f64 v[6:7], v[8:9], 0.5
	v_mul_f64 v[8:9], v[10:11], 0.5
	;; [unrolled: 1-line block ×3, first 2 shown]
	s_waitcnt vmcnt(0)
	v_mul_f64 v[4:5], v[6:7], v[21:22]
	v_fma_f64 v[10:11], v[8:9], v[21:22], v[2:3]
	v_fma_f64 v[2:3], v[8:9], v[21:22], -v[2:3]
	v_fma_f64 v[13:14], v[0:1], 0.5, v[4:5]
	v_fma_f64 v[0:1], v[0:1], 0.5, -v[4:5]
	v_fma_f64 v[4:5], -v[19:20], v[6:7], v[10:11]
	v_fma_f64 v[2:3], -v[19:20], v[6:7], v[2:3]
	v_fma_f64 v[6:7], v[8:9], v[19:20], v[13:14]
	v_fma_f64 v[0:1], -v[8:9], v[19:20], v[0:1]
	ds_write_b64 v15, v[4:5] offset:8
	ds_write_b64 v12, v[2:3] offset:11096
	ds_write_b64 v15, v[6:7]
	ds_write_b64 v12, v[0:1] offset:11088
	s_waitcnt lgkmcnt(0)
	s_barrier
	buffer_gl0_inv
	s_and_saveexec_b32 s0, vcc_lo
	s_cbranch_execz .LBB0_32
; %bb.30:
	v_mov_b32_e32 v137, v139
	ds_read_b128 v[2:5], v152
	ds_read_b128 v[6:9], v152 offset:1008
	ds_read_b128 v[10:13], v152 offset:2016
	;; [unrolled: 1-line block ×4, first 2 shown]
	v_add_co_u32 v0, vcc_lo, s2, v140
	v_lshlrev_b64 v[22:23], 4, v[136:137]
	v_add_co_ci_u32_e32 v1, vcc_lo, s3, v141, vcc_lo
	v_add_co_u32 v38, vcc_lo, v0, v22
	v_add_co_ci_u32_e32 v39, vcc_lo, v1, v23, vcc_lo
	s_waitcnt lgkmcnt(4)
	global_store_dwordx4 v[38:39], v[2:5], off
	s_waitcnt lgkmcnt(3)
	global_store_dwordx4 v[38:39], v[6:9], off offset:1008
	s_waitcnt lgkmcnt(2)
	global_store_dwordx4 v[38:39], v[10:13], off offset:2016
	v_add_co_u32 v30, vcc_lo, 0x800, v38
	v_add_co_ci_u32_e32 v31, vcc_lo, 0, v39, vcc_lo
	ds_read_b128 v[2:5], v152 offset:5040
	ds_read_b128 v[6:9], v152 offset:6048
	;; [unrolled: 1-line block ×5, first 2 shown]
	s_waitcnt lgkmcnt(6)
	global_store_dwordx4 v[30:31], v[14:17], off offset:976
	ds_read_b128 v[14:17], v152 offset:10080
	s_waitcnt lgkmcnt(6)
	global_store_dwordx4 v[30:31], v[18:21], off offset:1984
	v_add_co_u32 v18, vcc_lo, 0x1000, v38
	v_add_co_ci_u32_e32 v19, vcc_lo, 0, v39, vcc_lo
	v_add_co_u32 v20, vcc_lo, 0x1800, v38
	v_add_co_ci_u32_e32 v21, vcc_lo, 0, v39, vcc_lo
	;; [unrolled: 2-line block ×3, first 2 shown]
	s_waitcnt lgkmcnt(5)
	global_store_dwordx4 v[18:19], v[2:5], off offset:944
	s_waitcnt lgkmcnt(4)
	global_store_dwordx4 v[18:19], v[6:9], off offset:1952
	;; [unrolled: 2-line block ×5, first 2 shown]
	ds_read_b128 v[2:5], v152 offset:11088
	v_add_co_u32 v40, vcc_lo, 0x2800, v38
	s_waitcnt lgkmcnt(1)
	global_store_dwordx4 v[30:31], v[14:17], off offset:1888
	ds_read_b128 v[6:9], v152 offset:12096
	ds_read_b128 v[10:13], v152 offset:13104
	ds_read_b128 v[14:17], v152 offset:14112
	ds_read_b128 v[18:21], v152 offset:15120
	ds_read_b128 v[22:25], v152 offset:16128
	ds_read_b128 v[26:29], v152 offset:17136
	ds_read_b128 v[30:33], v152 offset:18144
	ds_read_b128 v[34:37], v152 offset:19152
	v_add_co_ci_u32_e32 v41, vcc_lo, 0, v39, vcc_lo
	v_add_co_u32 v42, vcc_lo, 0x3000, v38
	v_add_co_ci_u32_e32 v43, vcc_lo, 0, v39, vcc_lo
	v_add_co_u32 v44, vcc_lo, 0x3800, v38
	v_add_co_ci_u32_e32 v45, vcc_lo, 0, v39, vcc_lo
	s_waitcnt lgkmcnt(8)
	global_store_dwordx4 v[40:41], v[2:5], off offset:848
	s_waitcnt lgkmcnt(7)
	global_store_dwordx4 v[40:41], v[6:9], off offset:1856
	;; [unrolled: 2-line block ×5, first 2 shown]
	v_add_co_u32 v2, vcc_lo, 0x4000, v38
	v_add_co_ci_u32_e32 v3, vcc_lo, 0, v39, vcc_lo
	v_add_co_u32 v4, vcc_lo, 0x4800, v38
	v_add_co_ci_u32_e32 v5, vcc_lo, 0, v39, vcc_lo
	v_cmp_eq_u32_e32 vcc_lo, 62, v136
	s_waitcnt lgkmcnt(3)
	global_store_dwordx4 v[44:45], v[22:25], off offset:1792
	s_waitcnt lgkmcnt(2)
	global_store_dwordx4 v[2:3], v[26:29], off offset:752
	;; [unrolled: 2-line block ×4, first 2 shown]
	s_and_b32 exec_lo, exec_lo, vcc_lo
	s_cbranch_execz .LBB0_32
; %bb.31:
	v_mov_b32_e32 v2, 0
	v_add_co_u32 v0, vcc_lo, 0x4800, v0
	v_add_co_ci_u32_e32 v1, vcc_lo, 0, v1, vcc_lo
	ds_read_b128 v[2:5], v2 offset:20160
	s_waitcnt lgkmcnt(0)
	global_store_dwordx4 v[0:1], v[2:5], off offset:1728
.LBB0_32:
	s_endpgm
	.section	.rodata,"a",@progbits
	.p2align	6, 0x0
	.amdhsa_kernel fft_rtc_back_len1260_factors_2_2_3_3_5_7_wgs_63_tpt_63_halfLds_dp_ip_CI_unitstride_sbrr_R2C_dirReg
		.amdhsa_group_segment_fixed_size 0
		.amdhsa_private_segment_fixed_size 0
		.amdhsa_kernarg_size 88
		.amdhsa_user_sgpr_count 6
		.amdhsa_user_sgpr_private_segment_buffer 1
		.amdhsa_user_sgpr_dispatch_ptr 0
		.amdhsa_user_sgpr_queue_ptr 0
		.amdhsa_user_sgpr_kernarg_segment_ptr 1
		.amdhsa_user_sgpr_dispatch_id 0
		.amdhsa_user_sgpr_flat_scratch_init 0
		.amdhsa_user_sgpr_private_segment_size 0
		.amdhsa_wavefront_size32 1
		.amdhsa_uses_dynamic_stack 0
		.amdhsa_system_sgpr_private_segment_wavefront_offset 0
		.amdhsa_system_sgpr_workgroup_id_x 1
		.amdhsa_system_sgpr_workgroup_id_y 0
		.amdhsa_system_sgpr_workgroup_id_z 0
		.amdhsa_system_sgpr_workgroup_info 0
		.amdhsa_system_vgpr_workitem_id 0
		.amdhsa_next_free_vgpr 242
		.amdhsa_next_free_sgpr 26
		.amdhsa_reserve_vcc 1
		.amdhsa_reserve_flat_scratch 0
		.amdhsa_float_round_mode_32 0
		.amdhsa_float_round_mode_16_64 0
		.amdhsa_float_denorm_mode_32 3
		.amdhsa_float_denorm_mode_16_64 3
		.amdhsa_dx10_clamp 1
		.amdhsa_ieee_mode 1
		.amdhsa_fp16_overflow 0
		.amdhsa_workgroup_processor_mode 1
		.amdhsa_memory_ordered 1
		.amdhsa_forward_progress 0
		.amdhsa_shared_vgpr_count 0
		.amdhsa_exception_fp_ieee_invalid_op 0
		.amdhsa_exception_fp_denorm_src 0
		.amdhsa_exception_fp_ieee_div_zero 0
		.amdhsa_exception_fp_ieee_overflow 0
		.amdhsa_exception_fp_ieee_underflow 0
		.amdhsa_exception_fp_ieee_inexact 0
		.amdhsa_exception_int_div_zero 0
	.end_amdhsa_kernel
	.text
.Lfunc_end0:
	.size	fft_rtc_back_len1260_factors_2_2_3_3_5_7_wgs_63_tpt_63_halfLds_dp_ip_CI_unitstride_sbrr_R2C_dirReg, .Lfunc_end0-fft_rtc_back_len1260_factors_2_2_3_3_5_7_wgs_63_tpt_63_halfLds_dp_ip_CI_unitstride_sbrr_R2C_dirReg
                                        ; -- End function
	.section	.AMDGPU.csdata,"",@progbits
; Kernel info:
; codeLenInByte = 18132
; NumSgprs: 28
; NumVgprs: 242
; ScratchSize: 0
; MemoryBound: 0
; FloatMode: 240
; IeeeMode: 1
; LDSByteSize: 0 bytes/workgroup (compile time only)
; SGPRBlocks: 3
; VGPRBlocks: 30
; NumSGPRsForWavesPerEU: 28
; NumVGPRsForWavesPerEU: 242
; Occupancy: 4
; WaveLimiterHint : 1
; COMPUTE_PGM_RSRC2:SCRATCH_EN: 0
; COMPUTE_PGM_RSRC2:USER_SGPR: 6
; COMPUTE_PGM_RSRC2:TRAP_HANDLER: 0
; COMPUTE_PGM_RSRC2:TGID_X_EN: 1
; COMPUTE_PGM_RSRC2:TGID_Y_EN: 0
; COMPUTE_PGM_RSRC2:TGID_Z_EN: 0
; COMPUTE_PGM_RSRC2:TIDIG_COMP_CNT: 0
	.text
	.p2alignl 6, 3214868480
	.fill 48, 4, 3214868480
	.type	__hip_cuid_d1af60d25c07b9ef,@object ; @__hip_cuid_d1af60d25c07b9ef
	.section	.bss,"aw",@nobits
	.globl	__hip_cuid_d1af60d25c07b9ef
__hip_cuid_d1af60d25c07b9ef:
	.byte	0                               ; 0x0
	.size	__hip_cuid_d1af60d25c07b9ef, 1

	.ident	"AMD clang version 19.0.0git (https://github.com/RadeonOpenCompute/llvm-project roc-6.4.0 25133 c7fe45cf4b819c5991fe208aaa96edf142730f1d)"
	.section	".note.GNU-stack","",@progbits
	.addrsig
	.addrsig_sym __hip_cuid_d1af60d25c07b9ef
	.amdgpu_metadata
---
amdhsa.kernels:
  - .args:
      - .actual_access:  read_only
        .address_space:  global
        .offset:         0
        .size:           8
        .value_kind:     global_buffer
      - .offset:         8
        .size:           8
        .value_kind:     by_value
      - .actual_access:  read_only
        .address_space:  global
        .offset:         16
        .size:           8
        .value_kind:     global_buffer
      - .actual_access:  read_only
        .address_space:  global
        .offset:         24
        .size:           8
        .value_kind:     global_buffer
      - .offset:         32
        .size:           8
        .value_kind:     by_value
      - .actual_access:  read_only
        .address_space:  global
        .offset:         40
        .size:           8
        .value_kind:     global_buffer
      - .actual_access:  read_only
        .address_space:  global
        .offset:         48
        .size:           8
        .value_kind:     global_buffer
      - .offset:         56
        .size:           4
        .value_kind:     by_value
      - .actual_access:  read_only
        .address_space:  global
        .offset:         64
        .size:           8
        .value_kind:     global_buffer
      - .actual_access:  read_only
        .address_space:  global
        .offset:         72
        .size:           8
        .value_kind:     global_buffer
      - .address_space:  global
        .offset:         80
        .size:           8
        .value_kind:     global_buffer
    .group_segment_fixed_size: 0
    .kernarg_segment_align: 8
    .kernarg_segment_size: 88
    .language:       OpenCL C
    .language_version:
      - 2
      - 0
    .max_flat_workgroup_size: 63
    .name:           fft_rtc_back_len1260_factors_2_2_3_3_5_7_wgs_63_tpt_63_halfLds_dp_ip_CI_unitstride_sbrr_R2C_dirReg
    .private_segment_fixed_size: 0
    .sgpr_count:     28
    .sgpr_spill_count: 0
    .symbol:         fft_rtc_back_len1260_factors_2_2_3_3_5_7_wgs_63_tpt_63_halfLds_dp_ip_CI_unitstride_sbrr_R2C_dirReg.kd
    .uniform_work_group_size: 1
    .uses_dynamic_stack: false
    .vgpr_count:     242
    .vgpr_spill_count: 0
    .wavefront_size: 32
    .workgroup_processor_mode: 1
amdhsa.target:   amdgcn-amd-amdhsa--gfx1030
amdhsa.version:
  - 1
  - 2
...

	.end_amdgpu_metadata
